;; amdgpu-corpus repo=ROCm/rocFFT kind=compiled arch=gfx906 opt=O3
	.text
	.amdgcn_target "amdgcn-amd-amdhsa--gfx906"
	.amdhsa_code_object_version 6
	.protected	fft_rtc_fwd_len676_factors_13_13_4_wgs_52_tpt_52_dp_op_CI_CI_sbrr_dirReg ; -- Begin function fft_rtc_fwd_len676_factors_13_13_4_wgs_52_tpt_52_dp_op_CI_CI_sbrr_dirReg
	.globl	fft_rtc_fwd_len676_factors_13_13_4_wgs_52_tpt_52_dp_op_CI_CI_sbrr_dirReg
	.p2align	8
	.type	fft_rtc_fwd_len676_factors_13_13_4_wgs_52_tpt_52_dp_op_CI_CI_sbrr_dirReg,@function
fft_rtc_fwd_len676_factors_13_13_4_wgs_52_tpt_52_dp_op_CI_CI_sbrr_dirReg: ; @fft_rtc_fwd_len676_factors_13_13_4_wgs_52_tpt_52_dp_op_CI_CI_sbrr_dirReg
; %bb.0:
	s_load_dwordx4 s[16:19], s[4:5], 0x18
	s_load_dwordx4 s[8:11], s[4:5], 0x0
	;; [unrolled: 1-line block ×3, first 2 shown]
	v_mul_u32_u24_e32 v1, 0x4ed, v0
	v_add_u32_sdwa v5, s6, v1 dst_sel:DWORD dst_unused:UNUSED_PAD src0_sel:DWORD src1_sel:WORD_1
	s_waitcnt lgkmcnt(0)
	s_load_dwordx2 s[20:21], s[16:17], 0x0
	s_load_dwordx2 s[2:3], s[18:19], 0x0
	v_cmp_lt_u64_e64 s[0:1], s[10:11], 2
	v_mov_b32_e32 v3, 0
	v_mov_b32_e32 v1, 0
	;; [unrolled: 1-line block ×3, first 2 shown]
	s_and_b64 vcc, exec, s[0:1]
	v_mov_b32_e32 v2, 0
	s_cbranch_vccnz .LBB0_8
; %bb.1:
	s_load_dwordx2 s[0:1], s[4:5], 0x10
	s_add_u32 s6, s18, 8
	s_addc_u32 s7, s19, 0
	s_add_u32 s22, s16, 8
	v_mov_b32_e32 v1, 0
	s_addc_u32 s23, s17, 0
	v_mov_b32_e32 v2, 0
	s_waitcnt lgkmcnt(0)
	s_add_u32 s24, s0, 8
	v_mov_b32_e32 v73, v2
	s_addc_u32 s25, s1, 0
	s_mov_b64 s[26:27], 1
	v_mov_b32_e32 v72, v1
.LBB0_2:                                ; =>This Inner Loop Header: Depth=1
	s_load_dwordx2 s[28:29], s[24:25], 0x0
                                        ; implicit-def: $vgpr74_vgpr75
	s_waitcnt lgkmcnt(0)
	v_or_b32_e32 v4, s29, v6
	v_cmp_ne_u64_e32 vcc, 0, v[3:4]
	s_and_saveexec_b64 s[0:1], vcc
	s_xor_b64 s[30:31], exec, s[0:1]
	s_cbranch_execz .LBB0_4
; %bb.3:                                ;   in Loop: Header=BB0_2 Depth=1
	v_cvt_f32_u32_e32 v4, s28
	v_cvt_f32_u32_e32 v7, s29
	s_sub_u32 s0, 0, s28
	s_subb_u32 s1, 0, s29
	v_mac_f32_e32 v4, 0x4f800000, v7
	v_rcp_f32_e32 v4, v4
	v_mul_f32_e32 v4, 0x5f7ffffc, v4
	v_mul_f32_e32 v7, 0x2f800000, v4
	v_trunc_f32_e32 v7, v7
	v_mac_f32_e32 v4, 0xcf800000, v7
	v_cvt_u32_f32_e32 v7, v7
	v_cvt_u32_f32_e32 v4, v4
	v_mul_lo_u32 v8, s0, v7
	v_mul_hi_u32 v9, s0, v4
	v_mul_lo_u32 v11, s1, v4
	v_mul_lo_u32 v10, s0, v4
	v_add_u32_e32 v8, v9, v8
	v_add_u32_e32 v8, v8, v11
	v_mul_hi_u32 v9, v4, v10
	v_mul_lo_u32 v11, v4, v8
	v_mul_hi_u32 v13, v4, v8
	v_mul_hi_u32 v12, v7, v10
	v_mul_lo_u32 v10, v7, v10
	v_mul_hi_u32 v14, v7, v8
	v_add_co_u32_e32 v9, vcc, v9, v11
	v_addc_co_u32_e32 v11, vcc, 0, v13, vcc
	v_mul_lo_u32 v8, v7, v8
	v_add_co_u32_e32 v9, vcc, v9, v10
	v_addc_co_u32_e32 v9, vcc, v11, v12, vcc
	v_addc_co_u32_e32 v10, vcc, 0, v14, vcc
	v_add_co_u32_e32 v8, vcc, v9, v8
	v_addc_co_u32_e32 v9, vcc, 0, v10, vcc
	v_add_co_u32_e32 v4, vcc, v4, v8
	v_addc_co_u32_e32 v7, vcc, v7, v9, vcc
	v_mul_lo_u32 v8, s0, v7
	v_mul_hi_u32 v9, s0, v4
	v_mul_lo_u32 v10, s1, v4
	v_mul_lo_u32 v11, s0, v4
	v_add_u32_e32 v8, v9, v8
	v_add_u32_e32 v8, v8, v10
	v_mul_lo_u32 v12, v4, v8
	v_mul_hi_u32 v13, v4, v11
	v_mul_hi_u32 v14, v4, v8
	;; [unrolled: 1-line block ×3, first 2 shown]
	v_mul_lo_u32 v11, v7, v11
	v_mul_hi_u32 v9, v7, v8
	v_add_co_u32_e32 v12, vcc, v13, v12
	v_addc_co_u32_e32 v13, vcc, 0, v14, vcc
	v_mul_lo_u32 v8, v7, v8
	v_add_co_u32_e32 v11, vcc, v12, v11
	v_addc_co_u32_e32 v10, vcc, v13, v10, vcc
	v_addc_co_u32_e32 v9, vcc, 0, v9, vcc
	v_add_co_u32_e32 v8, vcc, v10, v8
	v_addc_co_u32_e32 v9, vcc, 0, v9, vcc
	v_add_co_u32_e32 v4, vcc, v4, v8
	v_addc_co_u32_e32 v9, vcc, v7, v9, vcc
	v_mad_u64_u32 v[7:8], s[0:1], v5, v9, 0
	v_mul_hi_u32 v10, v5, v4
	v_add_co_u32_e32 v11, vcc, v10, v7
	v_addc_co_u32_e32 v12, vcc, 0, v8, vcc
	v_mad_u64_u32 v[7:8], s[0:1], v6, v4, 0
	v_mad_u64_u32 v[9:10], s[0:1], v6, v9, 0
	v_add_co_u32_e32 v4, vcc, v11, v7
	v_addc_co_u32_e32 v4, vcc, v12, v8, vcc
	v_addc_co_u32_e32 v7, vcc, 0, v10, vcc
	v_add_co_u32_e32 v4, vcc, v4, v9
	v_addc_co_u32_e32 v9, vcc, 0, v7, vcc
	v_mul_lo_u32 v10, s29, v4
	v_mul_lo_u32 v11, s28, v9
	v_mad_u64_u32 v[7:8], s[0:1], s28, v4, 0
	v_add3_u32 v8, v8, v11, v10
	v_sub_u32_e32 v10, v6, v8
	v_mov_b32_e32 v11, s29
	v_sub_co_u32_e32 v7, vcc, v5, v7
	v_subb_co_u32_e64 v10, s[0:1], v10, v11, vcc
	v_subrev_co_u32_e64 v11, s[0:1], s28, v7
	v_subbrev_co_u32_e64 v10, s[0:1], 0, v10, s[0:1]
	v_cmp_le_u32_e64 s[0:1], s29, v10
	v_cndmask_b32_e64 v12, 0, -1, s[0:1]
	v_cmp_le_u32_e64 s[0:1], s28, v11
	v_cndmask_b32_e64 v11, 0, -1, s[0:1]
	v_cmp_eq_u32_e64 s[0:1], s29, v10
	v_cndmask_b32_e64 v10, v12, v11, s[0:1]
	v_add_co_u32_e64 v11, s[0:1], 2, v4
	v_addc_co_u32_e64 v12, s[0:1], 0, v9, s[0:1]
	v_add_co_u32_e64 v13, s[0:1], 1, v4
	v_addc_co_u32_e64 v14, s[0:1], 0, v9, s[0:1]
	v_subb_co_u32_e32 v8, vcc, v6, v8, vcc
	v_cmp_ne_u32_e64 s[0:1], 0, v10
	v_cmp_le_u32_e32 vcc, s29, v8
	v_cndmask_b32_e64 v10, v14, v12, s[0:1]
	v_cndmask_b32_e64 v12, 0, -1, vcc
	v_cmp_le_u32_e32 vcc, s28, v7
	v_cndmask_b32_e64 v7, 0, -1, vcc
	v_cmp_eq_u32_e32 vcc, s29, v8
	v_cndmask_b32_e32 v7, v12, v7, vcc
	v_cmp_ne_u32_e32 vcc, 0, v7
	v_cndmask_b32_e64 v7, v13, v11, s[0:1]
	v_cndmask_b32_e32 v75, v9, v10, vcc
	v_cndmask_b32_e32 v74, v4, v7, vcc
.LBB0_4:                                ;   in Loop: Header=BB0_2 Depth=1
	s_andn2_saveexec_b64 s[0:1], s[30:31]
	s_cbranch_execz .LBB0_6
; %bb.5:                                ;   in Loop: Header=BB0_2 Depth=1
	v_cvt_f32_u32_e32 v4, s28
	s_sub_i32 s30, 0, s28
	v_mov_b32_e32 v75, v3
	v_rcp_iflag_f32_e32 v4, v4
	v_mul_f32_e32 v4, 0x4f7ffffe, v4
	v_cvt_u32_f32_e32 v4, v4
	v_mul_lo_u32 v7, s30, v4
	v_mul_hi_u32 v7, v4, v7
	v_add_u32_e32 v4, v4, v7
	v_mul_hi_u32 v4, v5, v4
	v_mul_lo_u32 v7, v4, s28
	v_add_u32_e32 v8, 1, v4
	v_sub_u32_e32 v7, v5, v7
	v_subrev_u32_e32 v9, s28, v7
	v_cmp_le_u32_e32 vcc, s28, v7
	v_cndmask_b32_e32 v7, v7, v9, vcc
	v_cndmask_b32_e32 v4, v4, v8, vcc
	v_add_u32_e32 v8, 1, v4
	v_cmp_le_u32_e32 vcc, s28, v7
	v_cndmask_b32_e32 v74, v4, v8, vcc
.LBB0_6:                                ;   in Loop: Header=BB0_2 Depth=1
	s_or_b64 exec, exec, s[0:1]
	v_mul_lo_u32 v4, v75, s28
	v_mul_lo_u32 v9, v74, s29
	v_mad_u64_u32 v[7:8], s[0:1], v74, s28, 0
	s_load_dwordx2 s[0:1], s[22:23], 0x0
	s_load_dwordx2 s[28:29], s[6:7], 0x0
	v_add3_u32 v4, v8, v9, v4
	v_sub_co_u32_e32 v5, vcc, v5, v7
	v_subb_co_u32_e32 v4, vcc, v6, v4, vcc
	s_waitcnt lgkmcnt(0)
	v_mul_lo_u32 v6, s0, v4
	v_mul_lo_u32 v7, s1, v5
	v_mad_u64_u32 v[1:2], s[0:1], s0, v5, v[1:2]
	v_mul_lo_u32 v4, s28, v4
	v_mul_lo_u32 v8, s29, v5
	v_mad_u64_u32 v[72:73], s[0:1], s28, v5, v[72:73]
	s_add_u32 s26, s26, 1
	s_addc_u32 s27, s27, 0
	s_add_u32 s6, s6, 8
	v_add3_u32 v73, v8, v73, v4
	s_addc_u32 s7, s7, 0
	v_mov_b32_e32 v4, s10
	s_add_u32 s22, s22, 8
	v_mov_b32_e32 v5, s11
	s_addc_u32 s23, s23, 0
	v_cmp_ge_u64_e32 vcc, s[26:27], v[4:5]
	s_add_u32 s24, s24, 8
	v_add3_u32 v2, v7, v2, v6
	s_addc_u32 s25, s25, 0
	s_cbranch_vccnz .LBB0_9
; %bb.7:                                ;   in Loop: Header=BB0_2 Depth=1
	v_mov_b32_e32 v5, v74
	v_mov_b32_e32 v6, v75
	s_branch .LBB0_2
.LBB0_8:
	v_mov_b32_e32 v73, v2
	v_mov_b32_e32 v75, v6
	;; [unrolled: 1-line block ×4, first 2 shown]
.LBB0_9:
	s_load_dwordx2 s[0:1], s[4:5], 0x28
	s_lshl_b64 s[10:11], s[10:11], 3
	s_add_u32 s4, s18, s10
	s_addc_u32 s5, s19, s11
                                        ; implicit-def: $vgpr78
                                        ; implicit-def: $vgpr80
                                        ; implicit-def: $vgpr81
                                        ; implicit-def: $vgpr79
	s_waitcnt lgkmcnt(0)
	v_cmp_gt_u64_e32 vcc, s[0:1], v[74:75]
	v_cmp_le_u64_e64 s[0:1], s[0:1], v[74:75]
	s_and_saveexec_b64 s[6:7], s[0:1]
	s_xor_b64 s[0:1], exec, s[6:7]
; %bb.10:
	s_mov_b32 s6, 0x4ec4ec5
	v_mul_hi_u32 v1, v0, s6
	v_mul_u32_u24_e32 v1, 52, v1
	v_sub_u32_e32 v78, v0, v1
	v_add_u32_e32 v80, 52, v78
	v_add_u32_e32 v81, 0x68, v78
	;; [unrolled: 1-line block ×3, first 2 shown]
                                        ; implicit-def: $vgpr0
                                        ; implicit-def: $vgpr1_vgpr2
; %bb.11:
	s_or_saveexec_b64 s[6:7], s[0:1]
                                        ; implicit-def: $vgpr50_vgpr51
                                        ; implicit-def: $vgpr38_vgpr39
                                        ; implicit-def: $vgpr14_vgpr15
                                        ; implicit-def: $vgpr6_vgpr7
                                        ; implicit-def: $vgpr22_vgpr23
                                        ; implicit-def: $vgpr34_vgpr35
                                        ; implicit-def: $vgpr54_vgpr55
                                        ; implicit-def: $vgpr42_vgpr43
                                        ; implicit-def: $vgpr18_vgpr19
                                        ; implicit-def: $vgpr10_vgpr11
                                        ; implicit-def: $vgpr26_vgpr27
                                        ; implicit-def: $vgpr30_vgpr31
                                        ; implicit-def: $vgpr46_vgpr47
	s_xor_b64 exec, exec, s[6:7]
	s_cbranch_execz .LBB0_13
; %bb.12:
	s_add_u32 s0, s16, s10
	s_mov_b32 s10, 0x4ec4ec5
	v_mul_hi_u32 v3, v0, s10
	s_addc_u32 s1, s17, s11
	s_load_dwordx2 s[0:1], s[0:1], 0x0
	v_mul_u32_u24_e32 v3, 52, v3
	v_sub_u32_e32 v78, v0, v3
	v_mad_u64_u32 v[3:4], s[10:11], s20, v78, 0
	s_waitcnt lgkmcnt(0)
	v_mul_lo_u32 v9, s1, v74
	v_mul_lo_u32 v10, s0, v75
	v_mad_u64_u32 v[5:6], s[0:1], s0, v74, 0
	v_mov_b32_e32 v0, v4
	v_mad_u64_u32 v[7:8], s[0:1], s21, v78, v[0:1]
	v_add3_u32 v6, v6, v10, v9
	v_lshlrev_b64 v[5:6], 4, v[5:6]
	v_mov_b32_e32 v4, v7
	v_mov_b32_e32 v0, s13
	v_add_co_u32_e64 v7, s[0:1], s12, v5
	v_add_u32_e32 v80, 52, v78
	v_addc_co_u32_e64 v8, s[0:1], v0, v6, s[0:1]
	v_mad_u64_u32 v[5:6], s[0:1], s20, v80, 0
	v_lshlrev_b64 v[0:1], 4, v[1:2]
	v_add_u32_e32 v81, 0x68, v78
	v_add_co_u32_e64 v12, s[0:1], v7, v0
	v_mov_b32_e32 v2, v6
	v_addc_co_u32_e64 v13, s[0:1], v8, v1, s[0:1]
	v_lshlrev_b64 v[0:1], 4, v[3:4]
	v_mad_u64_u32 v[2:3], s[0:1], s21, v80, v[2:3]
	v_mad_u64_u32 v[3:4], s[0:1], s20, v81, 0
	v_add_co_u32_e64 v0, s[0:1], v12, v0
	v_mov_b32_e32 v6, v2
	v_mov_b32_e32 v2, v4
	v_addc_co_u32_e64 v1, s[0:1], v13, v1, s[0:1]
	v_mad_u64_u32 v[7:8], s[0:1], s21, v81, v[2:3]
	v_add_u32_e32 v79, 0x9c, v78
	v_mad_u64_u32 v[8:9], s[0:1], s20, v79, 0
	v_lshlrev_b64 v[5:6], 4, v[5:6]
	v_mov_b32_e32 v4, v7
	v_add_co_u32_e64 v56, s[0:1], v12, v5
	v_lshlrev_b64 v[2:3], 4, v[3:4]
	v_mov_b32_e32 v4, v9
	v_addc_co_u32_e64 v57, s[0:1], v13, v6, s[0:1]
	v_mad_u64_u32 v[4:5], s[0:1], s21, v79, v[4:5]
	v_add_u32_e32 v10, 0xd0, v78
	v_mad_u64_u32 v[5:6], s[0:1], s20, v10, 0
	v_add_co_u32_e64 v2, s[0:1], v12, v2
	v_mov_b32_e32 v9, v4
	v_mov_b32_e32 v4, v6
	v_addc_co_u32_e64 v3, s[0:1], v13, v3, s[0:1]
	v_lshlrev_b64 v[7:8], 4, v[8:9]
	v_mad_u64_u32 v[9:10], s[0:1], s21, v10, v[4:5]
	v_add_u32_e32 v14, 0x104, v78
	v_mad_u64_u32 v[10:11], s[0:1], s20, v14, 0
	v_mov_b32_e32 v6, v9
	v_add_co_u32_e64 v58, s[0:1], v12, v7
	v_lshlrev_b64 v[4:5], 4, v[5:6]
	v_mov_b32_e32 v6, v11
	v_addc_co_u32_e64 v59, s[0:1], v13, v8, s[0:1]
	v_mad_u64_u32 v[6:7], s[0:1], s21, v14, v[6:7]
	v_add_u32_e32 v9, 0x138, v78
	v_mad_u64_u32 v[7:8], s[0:1], s20, v9, 0
	v_add_co_u32_e64 v60, s[0:1], v12, v4
	v_mov_b32_e32 v11, v6
	v_mov_b32_e32 v6, v8
	v_addc_co_u32_e64 v61, s[0:1], v13, v5, s[0:1]
	v_lshlrev_b64 v[4:5], 4, v[10:11]
	v_mad_u64_u32 v[8:9], s[0:1], s21, v9, v[6:7]
	v_add_u32_e32 v11, 0x16c, v78
	v_mad_u64_u32 v[9:10], s[0:1], s20, v11, 0
	v_add_co_u32_e64 v62, s[0:1], v12, v4
	v_mov_b32_e32 v6, v10
	v_addc_co_u32_e64 v63, s[0:1], v13, v5, s[0:1]
	v_lshlrev_b64 v[4:5], 4, v[7:8]
	v_mad_u64_u32 v[6:7], s[0:1], s21, v11, v[6:7]
	v_add_u32_e32 v11, 0x1a0, v78
	v_mad_u64_u32 v[7:8], s[0:1], s20, v11, 0
	v_add_co_u32_e64 v64, s[0:1], v12, v4
	v_mov_b32_e32 v10, v6
	v_mov_b32_e32 v6, v8
	v_addc_co_u32_e64 v65, s[0:1], v13, v5, s[0:1]
	v_lshlrev_b64 v[4:5], 4, v[9:10]
	v_mad_u64_u32 v[8:9], s[0:1], s21, v11, v[6:7]
	v_add_u32_e32 v11, 0x1d4, v78
	v_mad_u64_u32 v[9:10], s[0:1], s20, v11, 0
	v_add_co_u32_e64 v66, s[0:1], v12, v4
	v_mov_b32_e32 v6, v10
	v_addc_co_u32_e64 v67, s[0:1], v13, v5, s[0:1]
	v_lshlrev_b64 v[4:5], 4, v[7:8]
	v_mad_u64_u32 v[6:7], s[0:1], s21, v11, v[6:7]
	v_add_u32_e32 v11, 0x208, v78
	v_mad_u64_u32 v[7:8], s[0:1], s20, v11, 0
	v_add_co_u32_e64 v68, s[0:1], v12, v4
	v_mov_b32_e32 v10, v6
	v_mov_b32_e32 v6, v8
	v_addc_co_u32_e64 v69, s[0:1], v13, v5, s[0:1]
	v_lshlrev_b64 v[4:5], 4, v[9:10]
	v_mad_u64_u32 v[8:9], s[0:1], s21, v11, v[6:7]
	v_add_u32_e32 v11, 0x23c, v78
	v_mad_u64_u32 v[9:10], s[0:1], s20, v11, 0
	v_add_co_u32_e64 v70, s[0:1], v12, v4
	v_mov_b32_e32 v6, v10
	v_addc_co_u32_e64 v71, s[0:1], v13, v5, s[0:1]
	v_lshlrev_b64 v[4:5], 4, v[7:8]
	v_mad_u64_u32 v[6:7], s[0:1], s21, v11, v[6:7]
	v_add_u32_e32 v11, 0x270, v78
	v_mad_u64_u32 v[7:8], s[0:1], s20, v11, 0
	v_add_co_u32_e64 v76, s[0:1], v12, v4
	v_mov_b32_e32 v10, v6
	v_mov_b32_e32 v6, v8
	v_addc_co_u32_e64 v77, s[0:1], v13, v5, s[0:1]
	v_lshlrev_b64 v[4:5], 4, v[9:10]
	v_mad_u64_u32 v[8:9], s[0:1], s21, v11, v[6:7]
	v_add_co_u32_e64 v82, s[0:1], v12, v4
	v_addc_co_u32_e64 v83, s[0:1], v13, v5, s[0:1]
	v_lshlrev_b64 v[4:5], 4, v[7:8]
	v_add_co_u32_e64 v84, s[0:1], v12, v4
	v_addc_co_u32_e64 v85, s[0:1], v13, v5, s[0:1]
	global_load_dwordx4 v[44:47], v[0:1], off
	global_load_dwordx4 v[48:51], v[56:57], off
	;; [unrolled: 1-line block ×13, first 2 shown]
.LBB0_13:
	s_or_b64 exec, exec, s[6:7]
	s_waitcnt vmcnt(11)
	v_add_f64 v[0:1], v[48:49], v[44:45]
	v_add_f64 v[2:3], v[50:51], v[46:47]
	s_waitcnt vmcnt(0)
	v_add_f64 v[56:57], v[48:49], v[52:53]
	v_add_f64 v[48:49], v[48:49], -v[52:53]
	s_mov_b32 s22, 0x4267c47c
	s_mov_b32 s18, 0x42a4c3d2
	s_mov_b32 s6, 0x66966769
	s_mov_b32 s42, 0x2ef20147
	v_add_f64 v[0:1], v[36:37], v[0:1]
	v_add_f64 v[2:3], v[38:39], v[2:3]
	s_mov_b32 s40, 0x24c2f84
	s_mov_b32 s36, 0x4bc48dbf
	s_mov_b32 s23, 0x3fddbe06
	s_mov_b32 s45, 0xbfddbe06
	s_mov_b32 s44, s22
	s_mov_b32 s19, 0x3fea55e2
	v_add_f64 v[0:1], v[28:29], v[0:1]
	v_add_f64 v[2:3], v[30:31], v[2:3]
	s_mov_b32 s35, 0xbfea55e2
	s_mov_b32 s34, s18
	;; [unrolled: 8-line block ×4, first 2 shown]
	v_add_f64 v[58:59], v[50:51], v[54:55]
	v_mul_f64 v[60:61], v[48:49], s[44:45]
	v_mul_f64 v[68:69], v[48:49], s[34:35]
	;; [unrolled: 1-line block ×3, first 2 shown]
	v_add_f64 v[0:1], v[4:5], v[0:1]
	v_add_f64 v[2:3], v[6:7], v[2:3]
	v_mul_f64 v[92:93], v[48:49], s[16:17]
	v_mul_f64 v[100:101], v[48:49], s[26:27]
	;; [unrolled: 1-line block ×3, first 2 shown]
	s_mov_b32 s20, 0xe00740e9
	s_mov_b32 s10, 0x1ea71119
	;; [unrolled: 1-line block ×3, first 2 shown]
	v_add_f64 v[0:1], v[8:9], v[0:1]
	v_add_f64 v[2:3], v[10:11], v[2:3]
	s_mov_b32 s12, 0xb2365da1
	s_mov_b32 s24, 0xd0032e0c
	s_mov_b32 s28, 0x93053d00
	s_mov_b32 s21, 0x3fec55a7
	s_mov_b32 s11, 0x3fe22d96
	s_mov_b32 s1, 0x3fbedb7d
	v_add_f64 v[0:1], v[16:17], v[0:1]
	v_add_f64 v[2:3], v[18:19], v[2:3]
	s_mov_b32 s13, 0xbfd6b1d8
	s_mov_b32 s25, 0xbfe7f3cc
	;; [unrolled: 1-line block ×3, first 2 shown]
	v_add_f64 v[50:51], v[50:51], -v[54:55]
	v_fma_f64 v[62:63], v[58:59], s[20:21], v[60:61]
	v_fma_f64 v[60:61], v[58:59], s[20:21], -v[60:61]
	v_add_f64 v[0:1], v[20:21], v[0:1]
	v_add_f64 v[2:3], v[22:23], v[2:3]
	v_mul_f64 v[64:65], v[56:57], s[10:11]
	v_fma_f64 v[70:71], v[58:59], s[10:11], v[68:69]
	v_fma_f64 v[68:69], v[58:59], s[10:11], -v[68:69]
	v_mul_f64 v[76:77], v[56:57], s[0:1]
	v_fma_f64 v[86:87], v[58:59], s[0:1], v[84:85]
	v_fma_f64 v[84:85], v[58:59], s[0:1], -v[84:85]
	v_add_f64 v[0:1], v[32:33], v[0:1]
	v_add_f64 v[2:3], v[34:35], v[2:3]
	v_mul_f64 v[88:89], v[56:57], s[12:13]
	v_fma_f64 v[94:95], v[58:59], s[12:13], v[92:93]
	v_fma_f64 v[92:93], v[58:59], s[12:13], -v[92:93]
	v_mul_f64 v[96:97], v[56:57], s[24:25]
	v_fma_f64 v[102:103], v[58:59], s[24:25], v[100:101]
	v_fma_f64 v[100:101], v[58:59], s[24:25], -v[100:101]
	v_add_f64 v[0:1], v[40:41], v[0:1]
	v_add_f64 v[2:3], v[42:43], v[2:3]
	v_fma_f64 v[106:107], v[58:59], s[28:29], v[48:49]
	v_fma_f64 v[48:49], v[58:59], s[28:29], -v[48:49]
	v_add_f64 v[62:63], v[62:63], v[46:47]
	v_add_f64 v[60:61], v[60:61], v[46:47]
	v_fma_f64 v[66:67], v[50:51], s[18:19], v[64:65]
	v_add_f64 v[70:71], v[70:71], v[46:47]
	v_add_f64 v[0:1], v[52:53], v[0:1]
	v_mul_f64 v[52:53], v[56:57], s[20:21]
	v_mul_f64 v[56:57], v[56:57], s[28:29]
	v_add_f64 v[2:3], v[54:55], v[2:3]
	v_fma_f64 v[64:65], v[50:51], s[34:35], v[64:65]
	v_add_f64 v[68:69], v[68:69], v[46:47]
	v_fma_f64 v[82:83], v[50:51], s[6:7], v[76:77]
	;; [unrolled: 2-line block ×3, first 2 shown]
	v_fma_f64 v[54:55], v[50:51], s[22:23], v[52:53]
	v_fma_f64 v[52:53], v[50:51], s[44:45], v[52:53]
	v_add_f64 v[84:85], v[84:85], v[46:47]
	v_fma_f64 v[90:91], v[50:51], s[42:43], v[88:89]
	v_add_f64 v[94:95], v[94:95], v[46:47]
	;; [unrolled: 2-line block ×7, first 2 shown]
	v_add_f64 v[48:49], v[36:37], v[40:41]
	v_add_f64 v[54:55], v[54:55], v[44:45]
	;; [unrolled: 1-line block ×14, first 2 shown]
	v_add_f64 v[36:37], v[36:37], -v[40:41]
	v_add_f64 v[38:39], v[38:39], -v[42:43]
	v_mul_f64 v[40:41], v[48:49], s[10:11]
	s_movk_i32 s33, 0xd0
	s_load_dwordx2 s[4:5], s[4:5], 0x0
	v_fma_f64 v[42:43], v[38:39], s[18:19], v[40:41]
	v_fma_f64 v[40:41], v[38:39], s[34:35], v[40:41]
	v_add_f64 v[42:43], v[42:43], v[54:55]
	v_mul_f64 v[54:55], v[36:37], s[34:35]
	v_add_f64 v[40:41], v[40:41], v[52:53]
	v_fma_f64 v[56:57], v[50:51], s[10:11], v[54:55]
	v_fma_f64 v[52:53], v[50:51], s[10:11], -v[54:55]
	v_mul_f64 v[54:55], v[48:49], s[12:13]
	v_add_f64 v[56:57], v[56:57], v[62:63]
	v_add_f64 v[52:53], v[52:53], v[60:61]
	v_fma_f64 v[58:59], v[38:39], s[42:43], v[54:55]
	v_fma_f64 v[54:55], v[38:39], s[16:17], v[54:55]
	v_mul_f64 v[60:61], v[36:37], s[16:17]
	v_add_f64 v[58:59], v[58:59], v[66:67]
	v_add_f64 v[54:55], v[54:55], v[64:65]
	v_mul_f64 v[64:65], v[48:49], s[28:29]
	v_fma_f64 v[62:63], v[50:51], s[12:13], v[60:61]
	v_fma_f64 v[60:61], v[50:51], s[12:13], -v[60:61]
	v_fma_f64 v[66:67], v[38:39], s[36:37], v[64:65]
	v_fma_f64 v[64:65], v[38:39], s[30:31], v[64:65]
	v_add_f64 v[60:61], v[60:61], v[68:69]
	v_mul_f64 v[68:69], v[36:37], s[30:31]
	v_add_f64 v[62:63], v[62:63], v[70:71]
	v_add_f64 v[66:67], v[66:67], v[82:83]
	;; [unrolled: 1-line block ×3, first 2 shown]
	v_mul_f64 v[76:77], v[48:49], s[24:25]
	v_fma_f64 v[70:71], v[50:51], s[28:29], v[68:69]
	v_fma_f64 v[68:69], v[50:51], s[28:29], -v[68:69]
	v_fma_f64 v[82:83], v[38:39], s[26:27], v[76:77]
	v_fma_f64 v[76:77], v[38:39], s[40:41], v[76:77]
	v_add_f64 v[68:69], v[68:69], v[84:85]
	v_mul_f64 v[84:85], v[36:37], s[40:41]
	v_add_f64 v[70:71], v[70:71], v[86:87]
	v_add_f64 v[82:83], v[82:83], v[90:91]
	;; [unrolled: 1-line block ×3, first 2 shown]
	v_mul_f64 v[88:89], v[48:49], s[0:1]
	v_fma_f64 v[86:87], v[50:51], s[24:25], v[84:85]
	v_fma_f64 v[84:85], v[50:51], s[24:25], -v[84:85]
	v_mul_f64 v[48:49], v[48:49], s[20:21]
	v_fma_f64 v[90:91], v[38:39], s[38:39], v[88:89]
	v_fma_f64 v[88:89], v[38:39], s[6:7], v[88:89]
	v_add_f64 v[84:85], v[84:85], v[92:93]
	v_mul_f64 v[92:93], v[36:37], s[6:7]
	v_mul_f64 v[36:37], v[36:37], s[22:23]
	v_add_f64 v[86:87], v[86:87], v[94:95]
	v_add_f64 v[90:91], v[90:91], v[98:99]
	;; [unrolled: 1-line block ×3, first 2 shown]
	v_fma_f64 v[96:97], v[38:39], s[44:45], v[48:49]
	v_fma_f64 v[38:39], v[38:39], s[22:23], v[48:49]
	;; [unrolled: 1-line block ×3, first 2 shown]
	v_fma_f64 v[36:37], v[50:51], s[20:21], -v[36:37]
	v_fma_f64 v[94:95], v[50:51], s[0:1], v[92:93]
	v_fma_f64 v[92:93], v[50:51], s[0:1], -v[92:93]
	v_add_f64 v[96:97], v[96:97], v[104:105]
	v_add_f64 v[38:39], v[38:39], v[44:45]
	;; [unrolled: 1-line block ×5, first 2 shown]
	v_add_f64 v[28:29], v[28:29], -v[32:33]
	v_add_f64 v[30:31], v[30:31], -v[34:35]
	v_add_f64 v[92:93], v[92:93], v[100:101]
	v_add_f64 v[98:99], v[98:99], v[106:107]
	;; [unrolled: 1-line block ×3, first 2 shown]
	v_mul_f64 v[32:33], v[44:45], s[0:1]
	v_fma_f64 v[34:35], v[30:31], s[6:7], v[32:33]
	v_fma_f64 v[32:33], v[30:31], s[38:39], v[32:33]
	v_add_f64 v[34:35], v[34:35], v[42:43]
	v_mul_f64 v[42:43], v[28:29], s[38:39]
	v_add_f64 v[32:33], v[32:33], v[40:41]
	v_fma_f64 v[48:49], v[46:47], s[0:1], v[42:43]
	v_fma_f64 v[40:41], v[46:47], s[0:1], -v[42:43]
	v_mul_f64 v[42:43], v[44:45], s[28:29]
	v_add_f64 v[48:49], v[48:49], v[56:57]
	v_add_f64 v[40:41], v[40:41], v[52:53]
	v_fma_f64 v[50:51], v[30:31], s[36:37], v[42:43]
	v_mul_f64 v[52:53], v[28:29], s[30:31]
	v_fma_f64 v[42:43], v[30:31], s[30:31], v[42:43]
	v_add_f64 v[50:51], v[50:51], v[58:59]
	v_fma_f64 v[56:57], v[46:47], s[28:29], v[52:53]
	v_add_f64 v[42:43], v[42:43], v[54:55]
	v_fma_f64 v[52:53], v[46:47], s[28:29], -v[52:53]
	v_mul_f64 v[54:55], v[44:45], s[12:13]
	v_add_f64 v[56:57], v[56:57], v[62:63]
	v_add_f64 v[52:53], v[52:53], v[60:61]
	v_fma_f64 v[58:59], v[30:31], s[16:17], v[54:55]
	v_mul_f64 v[60:61], v[28:29], s[42:43]
	v_fma_f64 v[54:55], v[30:31], s[42:43], v[54:55]
	v_add_f64 v[58:59], v[58:59], v[66:67]
	v_fma_f64 v[62:63], v[46:47], s[12:13], v[60:61]
	v_add_f64 v[54:55], v[54:55], v[64:65]
	;; [unrolled: 10-line block ×3, first 2 shown]
	v_fma_f64 v[68:69], v[46:47], s[20:21], -v[68:69]
	v_mul_f64 v[76:77], v[44:45], s[10:11]
	v_mul_f64 v[44:45], v[44:45], s[24:25]
	v_add_f64 v[70:71], v[70:71], v[86:87]
	v_add_f64 v[68:69], v[68:69], v[84:85]
	v_fma_f64 v[82:83], v[30:31], s[18:19], v[76:77]
	v_mul_f64 v[84:85], v[28:29], s[34:35]
	v_mul_f64 v[28:29], v[28:29], s[26:27]
	v_fma_f64 v[76:77], v[30:31], s[34:35], v[76:77]
	v_add_f64 v[82:83], v[82:83], v[90:91]
	v_fma_f64 v[86:87], v[46:47], s[10:11], v[84:85]
	v_fma_f64 v[90:91], v[46:47], s[24:25], v[28:29]
	v_fma_f64 v[28:29], v[46:47], s[24:25], -v[28:29]
	v_add_f64 v[76:77], v[76:77], v[88:89]
	v_fma_f64 v[88:89], v[30:31], s[40:41], v[44:45]
	v_fma_f64 v[30:31], v[30:31], s[26:27], v[44:45]
	v_fma_f64 v[84:85], v[46:47], s[10:11], -v[84:85]
	v_add_f64 v[86:87], v[86:87], v[94:95]
	v_add_f64 v[90:91], v[90:91], v[98:99]
	;; [unrolled: 1-line block ×4, first 2 shown]
	v_add_f64 v[20:21], v[24:25], -v[20:21]
	v_add_f64 v[30:31], v[30:31], v[38:39]
	v_add_f64 v[38:39], v[22:23], v[26:27]
	v_add_f64 v[22:23], v[26:27], -v[22:23]
	v_add_f64 v[84:85], v[84:85], v[92:93]
	v_add_f64 v[92:93], v[12:13], v[16:17]
	;; [unrolled: 1-line block ×3, first 2 shown]
	v_mul_f64 v[24:25], v[36:37], s[12:13]
	v_mul_f64 v[46:47], v[20:21], s[40:41]
	v_add_f64 v[96:97], v[12:13], -v[16:17]
	v_add_f64 v[98:99], v[14:15], -v[18:19]
	v_add_f64 v[94:95], v[14:15], v[18:19]
	v_mul_f64 v[12:13], v[92:93], s[24:25]
	v_fma_f64 v[26:27], v[22:23], s[42:43], v[24:25]
	v_fma_f64 v[24:25], v[22:23], s[16:17], v[24:25]
	;; [unrolled: 1-line block ×4, first 2 shown]
	v_add_f64 v[26:27], v[26:27], v[34:35]
	v_mul_f64 v[34:35], v[20:21], s[16:17]
	v_add_f64 v[24:25], v[24:25], v[32:33]
	v_add_f64 v[18:19], v[14:15], v[26:27]
	v_fma_f64 v[44:45], v[38:39], s[12:13], v[34:35]
	v_fma_f64 v[32:33], v[38:39], s[12:13], -v[34:35]
	v_mul_f64 v[34:35], v[36:37], s[24:25]
	v_mul_f64 v[14:15], v[96:97], s[26:27]
	v_add_f64 v[44:45], v[44:45], v[48:49]
	v_add_f64 v[32:33], v[32:33], v[40:41]
	v_fma_f64 v[40:41], v[22:23], s[26:27], v[34:35]
	v_fma_f64 v[34:35], v[22:23], s[40:41], v[34:35]
	;; [unrolled: 1-line block ×4, first 2 shown]
	v_add_f64 v[40:41], v[40:41], v[50:51]
	v_add_f64 v[34:35], v[34:35], v[42:43]
	v_fma_f64 v[42:43], v[38:39], s[24:25], -v[46:47]
	v_mul_f64 v[46:47], v[36:37], s[20:21]
	v_add_f64 v[48:49], v[48:49], v[56:57]
	v_add_f64 v[42:43], v[42:43], v[52:53]
	v_mul_f64 v[52:53], v[20:21], s[22:23]
	v_fma_f64 v[50:51], v[22:23], s[44:45], v[46:47]
	v_fma_f64 v[46:47], v[22:23], s[22:23], v[46:47]
	;; [unrolled: 1-line block ×3, first 2 shown]
	v_fma_f64 v[52:53], v[38:39], s[20:21], -v[52:53]
	v_add_f64 v[46:47], v[46:47], v[54:55]
	v_add_f64 v[50:51], v[50:51], v[58:59]
	v_add_f64 v[56:57], v[56:57], v[62:63]
	v_add_f64 v[54:55], v[52:53], v[60:61]
	v_mul_f64 v[52:53], v[36:37], s[0:1]
	v_fma_f64 v[58:59], v[22:23], s[6:7], v[52:53]
	v_fma_f64 v[52:53], v[22:23], s[38:39], v[52:53]
	v_add_f64 v[66:67], v[58:59], v[66:67]
	v_mul_f64 v[58:59], v[20:21], s[38:39]
	v_add_f64 v[64:65], v[52:53], v[64:65]
	v_fma_f64 v[52:53], v[38:39], s[0:1], -v[58:59]
	v_fma_f64 v[60:61], v[38:39], s[0:1], v[58:59]
	v_add_f64 v[68:69], v[52:53], v[68:69]
	v_mul_f64 v[52:53], v[36:37], s[28:29]
	v_add_f64 v[70:71], v[60:61], v[70:71]
	v_mul_f64 v[36:37], v[36:37], s[10:11]
	v_fma_f64 v[58:59], v[22:23], s[30:31], v[52:53]
	v_fma_f64 v[52:53], v[22:23], s[36:37], v[52:53]
	v_add_f64 v[82:83], v[58:59], v[82:83]
	v_mul_f64 v[58:59], v[20:21], s[36:37]
	v_add_f64 v[76:77], v[52:53], v[76:77]
	v_mul_f64 v[20:21], v[20:21], s[18:19]
	v_fma_f64 v[60:61], v[38:39], s[28:29], v[58:59]
	v_fma_f64 v[52:53], v[38:39], s[28:29], -v[58:59]
	v_add_f64 v[58:59], v[16:17], v[44:45]
	v_add_f64 v[86:87], v[60:61], v[86:87]
	;; [unrolled: 1-line block ×3, first 2 shown]
	v_fma_f64 v[12:13], v[94:95], s[24:25], -v[14:15]
	v_mul_f64 v[14:15], v[92:93], s[0:1]
	v_add_f64 v[84:85], v[52:53], v[84:85]
	v_fma_f64 v[52:53], v[22:23], s[34:35], v[36:37]
	v_mul_f64 v[24:25], v[96:97], s[6:7]
	v_fma_f64 v[22:23], v[22:23], s[18:19], v[36:37]
	v_add_f64 v[62:63], v[12:13], v[32:33]
	v_fma_f64 v[12:13], v[98:99], s[38:39], v[14:15]
	v_fma_f64 v[14:15], v[98:99], s[6:7], v[14:15]
	v_add_f64 v[88:89], v[52:53], v[88:89]
	v_fma_f64 v[52:53], v[38:39], s[10:11], v[20:21]
	v_fma_f64 v[20:21], v[38:39], s[10:11], -v[20:21]
	v_add_f64 v[22:23], v[22:23], v[30:31]
	v_add_f64 v[16:17], v[12:13], v[40:41]
	v_fma_f64 v[12:13], v[94:95], s[0:1], v[24:25]
	v_fma_f64 v[24:25], v[94:95], s[0:1], -v[24:25]
	v_add_f64 v[90:91], v[52:53], v[90:91]
	v_add_f64 v[20:21], v[20:21], v[28:29]
	;; [unrolled: 1-line block ×5, first 2 shown]
	v_mul_f64 v[24:25], v[92:93], s[10:11]
	v_fma_f64 v[26:27], v[98:99], s[18:19], v[24:25]
	v_fma_f64 v[24:25], v[98:99], s[34:35], v[24:25]
	v_add_f64 v[50:51], v[26:27], v[50:51]
	v_mul_f64 v[26:27], v[96:97], s[34:35]
	v_add_f64 v[46:47], v[24:25], v[46:47]
	v_fma_f64 v[24:25], v[94:95], s[10:11], -v[26:27]
	v_fma_f64 v[28:29], v[94:95], s[10:11], v[26:27]
	v_add_f64 v[48:49], v[24:25], v[54:55]
	v_mul_f64 v[24:25], v[92:93], s[28:29]
	v_add_f64 v[44:45], v[28:29], v[56:57]
	v_mul_f64 v[54:55], v[92:93], s[12:13]
	v_mul_f64 v[56:57], v[96:97], s[16:17]
	v_fma_f64 v[26:27], v[98:99], s[30:31], v[24:25]
	v_fma_f64 v[24:25], v[98:99], s[36:37], v[24:25]
	v_add_f64 v[42:43], v[26:27], v[66:67]
	v_mul_f64 v[26:27], v[96:97], s[36:37]
	v_add_f64 v[38:39], v[24:25], v[64:65]
	v_add_f64 v[66:67], v[4:5], v[8:9]
	v_add_f64 v[64:65], v[4:5], -v[8:9]
	v_fma_f64 v[24:25], v[94:95], s[28:29], -v[26:27]
	v_fma_f64 v[28:29], v[94:95], s[28:29], v[26:27]
	v_mul_f64 v[4:5], v[66:67], s[28:29]
	v_add_f64 v[36:37], v[24:25], v[68:69]
	v_mul_f64 v[24:25], v[92:93], s[20:21]
	v_add_f64 v[40:41], v[28:29], v[70:71]
	v_fma_f64 v[26:27], v[98:99], s[44:45], v[24:25]
	v_fma_f64 v[24:25], v[98:99], s[22:23], v[24:25]
	v_add_f64 v[28:29], v[26:27], v[82:83]
	v_mul_f64 v[26:27], v[96:97], s[22:23]
	v_add_f64 v[32:33], v[24:25], v[76:77]
	v_mad_u32_u24 v76, v78, s33, 0
	s_movk_i32 s33, 0xff40
	v_mad_i32_i24 v82, v78, s33, v76
	s_movk_i32 s33, 0x4f
	v_lshl_add_u32 v83, v81, 4, 0
	v_lshl_add_u32 v77, v79, 4, 0
	v_fma_f64 v[24:25], v[94:95], s[20:21], -v[26:27]
	v_fma_f64 v[30:31], v[94:95], s[20:21], v[26:27]
	v_add_f64 v[34:35], v[24:25], v[84:85]
	v_fma_f64 v[24:25], v[98:99], s[42:43], v[54:55]
	v_fma_f64 v[54:55], v[98:99], s[16:17], v[54:55]
	v_add_f64 v[30:31], v[30:31], v[86:87]
	v_add_f64 v[26:27], v[24:25], v[88:89]
	v_fma_f64 v[24:25], v[94:95], s[12:13], v[56:57]
	v_add_f64 v[22:23], v[54:55], v[22:23]
	v_fma_f64 v[54:55], v[94:95], s[12:13], -v[56:57]
	v_add_f64 v[56:57], v[6:7], -v[10:11]
	v_add_f64 v[24:25], v[24:25], v[90:91]
	v_add_f64 v[20:21], v[54:55], v[20:21]
	;; [unrolled: 1-line block ×3, first 2 shown]
	v_fma_f64 v[6:7], v[56:57], s[36:37], v[4:5]
	v_fma_f64 v[4:5], v[56:57], s[30:31], v[4:5]
	v_add_f64 v[8:9], v[6:7], v[18:19]
	v_mul_f64 v[6:7], v[64:65], s[30:31]
	v_add_f64 v[4:5], v[4:5], v[60:61]
	v_mul_f64 v[60:61], v[64:65], s[22:23]
	v_fma_f64 v[10:11], v[54:55], s[28:29], v[6:7]
	v_fma_f64 v[6:7], v[54:55], s[28:29], -v[6:7]
	v_add_f64 v[10:11], v[10:11], v[58:59]
	v_mul_f64 v[58:59], v[66:67], s[20:21]
	v_add_f64 v[6:7], v[6:7], v[62:63]
	v_fma_f64 v[18:19], v[56:57], s[44:45], v[58:59]
	v_add_f64 v[16:17], v[18:19], v[16:17]
	v_fma_f64 v[18:19], v[54:55], s[20:21], v[60:61]
	;; [unrolled: 2-line block ×3, first 2 shown]
	v_mul_f64 v[58:59], v[66:67], s[24:25]
	v_add_f64 v[12:13], v[12:13], v[14:15]
	v_fma_f64 v[14:15], v[54:55], s[20:21], -v[60:61]
	v_mul_f64 v[60:61], v[64:65], s[26:27]
	v_add_f64 v[14:15], v[14:15], v[52:53]
	v_fma_f64 v[52:53], v[56:57], s[40:41], v[58:59]
	v_add_f64 v[50:51], v[52:53], v[50:51]
	v_fma_f64 v[52:53], v[54:55], s[24:25], v[60:61]
	;; [unrolled: 2-line block ×3, first 2 shown]
	v_add_f64 v[44:45], v[44:45], v[46:47]
	v_fma_f64 v[46:47], v[54:55], s[24:25], -v[60:61]
	v_add_f64 v[46:47], v[46:47], v[48:49]
	v_mul_f64 v[48:49], v[66:67], s[10:11]
	v_fma_f64 v[58:59], v[56:57], s[34:35], v[48:49]
	v_add_f64 v[58:59], v[58:59], v[42:43]
	v_mul_f64 v[42:43], v[64:65], s[18:19]
	v_fma_f64 v[60:61], v[54:55], s[10:11], v[42:43]
	v_add_f64 v[60:61], v[60:61], v[40:41]
	v_fma_f64 v[40:41], v[56:57], s[18:19], v[48:49]
	v_add_f64 v[38:39], v[40:41], v[38:39]
	v_fma_f64 v[40:41], v[54:55], s[10:11], -v[42:43]
	v_add_f64 v[40:41], v[40:41], v[36:37]
	v_mul_f64 v[36:37], v[66:67], s[12:13]
	v_fma_f64 v[42:43], v[56:57], s[42:43], v[36:37]
	v_fma_f64 v[36:37], v[56:57], s[16:17], v[36:37]
	v_add_f64 v[28:29], v[42:43], v[28:29]
	v_mul_f64 v[42:43], v[64:65], s[16:17]
	v_add_f64 v[32:33], v[36:37], v[32:33]
	v_fma_f64 v[36:37], v[54:55], s[12:13], -v[42:43]
	v_fma_f64 v[48:49], v[54:55], s[12:13], v[42:43]
	v_add_f64 v[34:35], v[36:37], v[34:35]
	v_mul_f64 v[36:37], v[66:67], s[0:1]
	v_add_f64 v[30:31], v[48:49], v[30:31]
	v_fma_f64 v[42:43], v[56:57], s[38:39], v[36:37]
	v_add_f64 v[62:63], v[42:43], v[26:27]
	v_mul_f64 v[26:27], v[64:65], s[6:7]
	v_fma_f64 v[42:43], v[54:55], s[0:1], v[26:27]
	v_add_f64 v[64:65], v[42:43], v[24:25]
	v_fma_f64 v[24:25], v[56:57], s[6:7], v[36:37]
	v_add_f64 v[22:23], v[24:25], v[22:23]
	v_fma_f64 v[24:25], v[54:55], s[0:1], -v[26:27]
	v_add_f64 v[24:25], v[24:25], v[20:21]
	v_mul_lo_u16_sdwa v20, v78, s33 dst_sel:DWORD dst_unused:UNUSED_PAD src0_sel:BYTE_0 src1_sel:DWORD
	ds_write_b128 v76, v[0:3]
	ds_write_b128 v76, v[8:11] offset:16
	ds_write_b128 v76, v[16:19] offset:32
	;; [unrolled: 1-line block ×12, first 2 shown]
	v_lshrrev_b16_e32 v53, 10, v20
	v_mul_lo_u16_e32 v20, 13, v53
	v_sub_u16_e32 v52, v78, v20
	v_mov_b32_e32 v20, 12
	v_mul_u32_u24_sdwa v20, v52, v20 dst_sel:DWORD dst_unused:UNUSED_PAD src0_sel:BYTE_0 src1_sel:DWORD
	v_lshl_add_u32 v64, v80, 4, 0
	v_lshlrev_b32_e32 v40, 4, v20
	s_waitcnt lgkmcnt(0)
	; wave barrier
	s_waitcnt lgkmcnt(0)
	ds_read_b128 v[4:7], v82
	ds_read_b128 v[0:3], v64
	;; [unrolled: 1-line block ×4, first 2 shown]
	ds_read_b128 v[16:19], v82 offset:3328
	ds_read_b128 v[44:47], v82 offset:4160
	;; [unrolled: 1-line block ×9, first 2 shown]
	global_load_dwordx4 v[20:23], v40, s[8:9] offset:48
	global_load_dwordx4 v[24:27], v40, s[8:9] offset:32
	;; [unrolled: 1-line block ×3, first 2 shown]
	global_load_dwordx4 v[32:35], v40, s[8:9]
	s_waitcnt vmcnt(0) lgkmcnt(11)
	v_mul_f64 v[36:37], v[2:3], v[34:35]
	v_fma_f64 v[62:63], v[0:1], v[32:33], -v[36:37]
	v_mul_f64 v[0:1], v[0:1], v[34:35]
	v_fma_f64 v[69:70], v[2:3], v[32:33], v[0:1]
	s_waitcnt lgkmcnt(10)
	v_mul_f64 v[0:1], v[10:11], v[30:31]
	v_fma_f64 v[42:43], v[8:9], v[28:29], -v[0:1]
	v_mul_f64 v[0:1], v[8:9], v[30:31]
	v_fma_f64 v[38:39], v[10:11], v[28:29], v[0:1]
	s_waitcnt lgkmcnt(9)
	;; [unrolled: 5-line block ×3, first 2 shown]
	v_mul_f64 v[0:1], v[18:19], v[22:23]
	v_fma_f64 v[26:27], v[16:17], v[20:21], -v[0:1]
	v_mul_f64 v[0:1], v[16:17], v[22:23]
	v_fma_f64 v[24:25], v[18:19], v[20:21], v[0:1]
	global_load_dwordx4 v[0:3], v40, s[8:9] offset:112
	global_load_dwordx4 v[96:99], v40, s[8:9] offset:96
	;; [unrolled: 1-line block ×4, first 2 shown]
	s_waitcnt vmcnt(3) lgkmcnt(4)
	v_mul_f64 v[18:19], v[60:61], v[2:3]
	v_mul_f64 v[2:3], v[58:59], v[2:3]
	s_waitcnt vmcnt(0)
	v_mul_f64 v[16:17], v[46:47], v[14:15]
	v_mul_f64 v[14:15], v[44:45], v[14:15]
	v_fma_f64 v[22:23], v[58:59], v[0:1], -v[18:19]
	v_fma_f64 v[18:19], v[60:61], v[0:1], v[2:3]
	v_fma_f64 v[20:21], v[44:45], v[12:13], -v[16:17]
	v_fma_f64 v[16:17], v[46:47], v[12:13], v[14:15]
	v_mul_f64 v[12:13], v[50:51], v[10:11]
	v_mul_f64 v[10:11], v[48:49], v[10:11]
	v_fma_f64 v[12:13], v[48:49], v[8:9], -v[12:13]
	v_fma_f64 v[8:9], v[50:51], v[8:9], v[10:11]
	v_mul_f64 v[10:11], v[56:57], v[98:99]
	v_fma_f64 v[14:15], v[54:55], v[96:97], -v[10:11]
	v_mul_f64 v[10:11], v[54:55], v[98:99]
	v_fma_f64 v[10:11], v[56:57], v[96:97], v[10:11]
	global_load_dwordx4 v[0:3], v40, s[8:9] offset:176
	global_load_dwordx4 v[44:47], v40, s[8:9] offset:160
	;; [unrolled: 1-line block ×4, first 2 shown]
	s_waitcnt lgkmcnt(0)
	; wave barrier
	s_waitcnt vmcnt(1) lgkmcnt(0)
	v_mul_f64 v[36:37], v[86:87], v[50:51]
	s_waitcnt vmcnt(0)
	v_mul_f64 v[28:29], v[67:68], v[56:57]
	v_fma_f64 v[40:41], v[84:85], v[48:49], -v[36:37]
	v_mul_f64 v[36:37], v[84:85], v[50:51]
	v_fma_f64 v[32:33], v[65:66], v[54:55], -v[28:29]
	v_mul_f64 v[28:29], v[65:66], v[56:57]
	v_fma_f64 v[36:37], v[86:87], v[48:49], v[36:37]
	v_mul_f64 v[48:49], v[90:91], v[46:47]
	v_mul_f64 v[46:47], v[88:89], v[46:47]
	v_fma_f64 v[28:29], v[67:68], v[54:55], v[28:29]
	v_fma_f64 v[48:49], v[88:89], v[44:45], -v[48:49]
	v_fma_f64 v[44:45], v[90:91], v[44:45], v[46:47]
	v_mul_f64 v[46:47], v[94:95], v[2:3]
	v_mul_f64 v[2:3], v[92:93], v[2:3]
	v_fma_f64 v[46:47], v[92:93], v[0:1], -v[46:47]
	v_fma_f64 v[50:51], v[94:95], v[0:1], v[2:3]
	v_add_f64 v[2:3], v[6:7], v[69:70]
	v_add_f64 v[0:1], v[4:5], v[62:63]
	;; [unrolled: 1-line block ×25, first 2 shown]
	v_add_f64 v[50:51], v[69:70], -v[50:51]
	v_add_f64 v[0:1], v[0:1], v[46:47]
	v_add_f64 v[46:47], v[62:63], -v[46:47]
	v_mul_f64 v[58:59], v[50:51], s[44:45]
	v_mul_f64 v[67:68], v[50:51], s[34:35]
	;; [unrolled: 1-line block ×8, first 2 shown]
	v_fma_f64 v[60:61], v[54:55], s[20:21], -v[58:59]
	v_fma_f64 v[58:59], v[54:55], s[20:21], v[58:59]
	v_fma_f64 v[69:70], v[54:55], s[10:11], -v[67:68]
	v_fma_f64 v[67:68], v[54:55], s[10:11], v[67:68]
	v_fma_f64 v[90:91], v[54:55], s[0:1], -v[88:89]
	v_mul_f64 v[92:93], v[46:47], s[38:39]
	v_fma_f64 v[88:89], v[54:55], s[0:1], v[88:89]
	v_fma_f64 v[98:99], v[54:55], s[12:13], -v[96:97]
	v_mul_f64 v[100:101], v[46:47], s[16:17]
	;; [unrolled: 3-line block ×4, first 2 shown]
	v_fma_f64 v[50:51], v[54:55], s[28:29], v[50:51]
	v_add_f64 v[60:61], v[4:5], v[60:61]
	v_fma_f64 v[65:66], v[56:57], s[20:21], v[62:63]
	v_add_f64 v[58:59], v[4:5], v[58:59]
	v_fma_f64 v[62:63], v[56:57], s[20:21], -v[62:63]
	v_add_f64 v[69:70], v[4:5], v[69:70]
	v_fma_f64 v[86:87], v[56:57], s[10:11], v[84:85]
	v_add_f64 v[67:68], v[4:5], v[67:68]
	v_fma_f64 v[84:85], v[56:57], s[10:11], -v[84:85]
	;; [unrolled: 4-line block ×6, first 2 shown]
	v_add_f64 v[50:51], v[38:39], v[44:45]
	v_add_f64 v[38:39], v[38:39], -v[44:45]
	v_add_f64 v[65:66], v[6:7], v[65:66]
	v_add_f64 v[62:63], v[6:7], v[62:63]
	;; [unrolled: 1-line block ×13, first 2 shown]
	v_mul_f64 v[44:45], v[38:39], s[34:35]
	v_add_f64 v[42:43], v[42:43], -v[48:49]
	v_fma_f64 v[48:49], v[46:47], s[10:11], -v[44:45]
	v_fma_f64 v[44:45], v[46:47], s[10:11], v[44:45]
	v_mul_f64 v[54:55], v[42:43], s[34:35]
	v_add_f64 v[48:49], v[48:49], v[60:61]
	v_add_f64 v[44:45], v[44:45], v[58:59]
	v_mul_f64 v[58:59], v[38:39], s[16:17]
	v_fma_f64 v[56:57], v[50:51], s[10:11], v[54:55]
	v_fma_f64 v[54:55], v[50:51], s[10:11], -v[54:55]
	v_fma_f64 v[60:61], v[46:47], s[12:13], -v[58:59]
	v_fma_f64 v[58:59], v[46:47], s[12:13], v[58:59]
	v_add_f64 v[54:55], v[54:55], v[62:63]
	v_mul_f64 v[62:63], v[42:43], s[16:17]
	v_add_f64 v[56:57], v[56:57], v[65:66]
	v_add_f64 v[60:61], v[60:61], v[69:70]
	v_add_f64 v[58:59], v[58:59], v[67:68]
	v_mul_f64 v[67:68], v[38:39], s[30:31]
	v_fma_f64 v[65:66], v[50:51], s[12:13], v[62:63]
	v_fma_f64 v[62:63], v[50:51], s[12:13], -v[62:63]
	v_fma_f64 v[69:70], v[46:47], s[28:29], -v[67:68]
	v_fma_f64 v[67:68], v[46:47], s[28:29], v[67:68]
	v_add_f64 v[62:63], v[62:63], v[84:85]
	v_mul_f64 v[84:85], v[42:43], s[30:31]
	v_add_f64 v[65:66], v[65:66], v[86:87]
	;; [unrolled: 10-line block ×3, first 2 shown]
	v_add_f64 v[90:91], v[90:91], v[98:99]
	v_add_f64 v[88:89], v[88:89], v[96:97]
	v_mul_f64 v[96:97], v[38:39], s[6:7]
	v_fma_f64 v[94:95], v[50:51], s[24:25], v[92:93]
	v_fma_f64 v[92:93], v[50:51], s[24:25], -v[92:93]
	v_mul_f64 v[38:39], v[38:39], s[22:23]
	v_fma_f64 v[98:99], v[46:47], s[0:1], -v[96:97]
	v_fma_f64 v[96:97], v[46:47], s[0:1], v[96:97]
	v_add_f64 v[92:93], v[92:93], v[100:101]
	v_mul_f64 v[100:101], v[42:43], s[6:7]
	v_mul_f64 v[42:43], v[42:43], s[22:23]
	v_add_f64 v[94:95], v[94:95], v[102:103]
	v_add_f64 v[98:99], v[98:99], v[106:107]
	;; [unrolled: 1-line block ×3, first 2 shown]
	v_fma_f64 v[104:105], v[46:47], s[20:21], -v[38:39]
	v_fma_f64 v[38:39], v[46:47], s[20:21], v[38:39]
	v_fma_f64 v[106:107], v[50:51], s[20:21], v[42:43]
	;; [unrolled: 1-line block ×3, first 2 shown]
	v_fma_f64 v[100:101], v[50:51], s[0:1], -v[100:101]
	v_add_f64 v[104:105], v[104:105], v[112:113]
	v_add_f64 v[4:5], v[38:39], v[4:5]
	v_fma_f64 v[38:39], v[50:51], s[20:21], -v[42:43]
	v_add_f64 v[42:43], v[30:31], v[36:37]
	v_add_f64 v[30:31], v[30:31], -v[36:37]
	v_add_f64 v[100:101], v[100:101], v[108:109]
	v_add_f64 v[106:107], v[106:107], v[114:115]
	;; [unrolled: 1-line block ×5, first 2 shown]
	v_add_f64 v[34:35], v[34:35], -v[40:41]
	v_mul_f64 v[36:37], v[30:31], s[38:39]
	v_mul_f64 v[46:47], v[34:35], s[38:39]
	v_fma_f64 v[40:41], v[38:39], s[0:1], -v[36:37]
	v_fma_f64 v[36:37], v[38:39], s[0:1], v[36:37]
	v_add_f64 v[40:41], v[40:41], v[48:49]
	v_fma_f64 v[48:49], v[42:43], s[0:1], v[46:47]
	v_add_f64 v[36:37], v[36:37], v[44:45]
	v_fma_f64 v[44:45], v[42:43], s[0:1], -v[46:47]
	v_mul_f64 v[46:47], v[30:31], s[30:31]
	v_add_f64 v[48:49], v[48:49], v[56:57]
	v_add_f64 v[44:45], v[44:45], v[54:55]
	v_fma_f64 v[50:51], v[38:39], s[28:29], -v[46:47]
	v_fma_f64 v[46:47], v[38:39], s[28:29], v[46:47]
	v_mul_f64 v[54:55], v[34:35], s[30:31]
	v_add_f64 v[50:51], v[50:51], v[60:61]
	v_add_f64 v[46:47], v[46:47], v[58:59]
	v_mul_f64 v[58:59], v[30:31], s[42:43]
	v_fma_f64 v[56:57], v[42:43], s[28:29], v[54:55]
	v_fma_f64 v[54:55], v[42:43], s[28:29], -v[54:55]
	v_fma_f64 v[60:61], v[38:39], s[12:13], -v[58:59]
	v_fma_f64 v[58:59], v[38:39], s[12:13], v[58:59]
	v_add_f64 v[54:55], v[54:55], v[62:63]
	v_mul_f64 v[62:63], v[34:35], s[42:43]
	v_add_f64 v[56:57], v[56:57], v[65:66]
	v_add_f64 v[60:61], v[60:61], v[69:70]
	;; [unrolled: 1-line block ×3, first 2 shown]
	v_mul_f64 v[67:68], v[30:31], s[22:23]
	v_fma_f64 v[65:66], v[42:43], s[12:13], v[62:63]
	v_fma_f64 v[62:63], v[42:43], s[12:13], -v[62:63]
	v_fma_f64 v[69:70], v[38:39], s[20:21], -v[67:68]
	v_fma_f64 v[67:68], v[38:39], s[20:21], v[67:68]
	v_add_f64 v[62:63], v[62:63], v[84:85]
	v_mul_f64 v[84:85], v[34:35], s[22:23]
	v_add_f64 v[65:66], v[65:66], v[86:87]
	v_add_f64 v[69:70], v[69:70], v[90:91]
	;; [unrolled: 1-line block ×3, first 2 shown]
	v_mul_f64 v[88:89], v[30:31], s[34:35]
	v_fma_f64 v[86:87], v[42:43], s[20:21], v[84:85]
	v_fma_f64 v[84:85], v[42:43], s[20:21], -v[84:85]
	v_mul_f64 v[30:31], v[30:31], s[26:27]
	v_fma_f64 v[90:91], v[38:39], s[10:11], -v[88:89]
	v_fma_f64 v[88:89], v[38:39], s[10:11], v[88:89]
	v_add_f64 v[84:85], v[84:85], v[92:93]
	v_mul_f64 v[92:93], v[34:35], s[34:35]
	v_mul_f64 v[34:35], v[34:35], s[26:27]
	v_add_f64 v[86:87], v[86:87], v[94:95]
	v_add_f64 v[90:91], v[90:91], v[98:99]
	;; [unrolled: 1-line block ×3, first 2 shown]
	v_fma_f64 v[96:97], v[38:39], s[24:25], -v[30:31]
	v_fma_f64 v[30:31], v[38:39], s[24:25], v[30:31]
	v_fma_f64 v[98:99], v[42:43], s[24:25], v[34:35]
	;; [unrolled: 1-line block ×3, first 2 shown]
	v_fma_f64 v[92:93], v[42:43], s[10:11], -v[92:93]
	v_add_f64 v[96:97], v[96:97], v[104:105]
	v_add_f64 v[4:5], v[30:31], v[4:5]
	v_fma_f64 v[30:31], v[42:43], s[24:25], -v[34:35]
	v_add_f64 v[34:35], v[24:25], v[28:29]
	v_add_f64 v[24:25], v[24:25], -v[28:29]
	v_add_f64 v[92:93], v[92:93], v[100:101]
	v_add_f64 v[98:99], v[98:99], v[106:107]
	;; [unrolled: 1-line block ×5, first 2 shown]
	v_add_f64 v[26:27], v[26:27], -v[32:33]
	v_mul_f64 v[28:29], v[24:25], s[16:17]
	v_mul_f64 v[38:39], v[26:27], s[16:17]
	v_fma_f64 v[32:33], v[30:31], s[12:13], -v[28:29]
	v_fma_f64 v[28:29], v[30:31], s[12:13], v[28:29]
	v_add_f64 v[32:33], v[32:33], v[40:41]
	v_fma_f64 v[40:41], v[34:35], s[12:13], v[38:39]
	v_add_f64 v[28:29], v[28:29], v[36:37]
	v_fma_f64 v[36:37], v[34:35], s[12:13], -v[38:39]
	v_mul_f64 v[38:39], v[24:25], s[40:41]
	v_add_f64 v[40:41], v[40:41], v[48:49]
	v_add_f64 v[36:37], v[36:37], v[44:45]
	v_fma_f64 v[42:43], v[30:31], s[24:25], -v[38:39]
	v_fma_f64 v[38:39], v[30:31], s[24:25], v[38:39]
	v_mul_f64 v[44:45], v[26:27], s[40:41]
	v_add_f64 v[42:43], v[42:43], v[50:51]
	v_add_f64 v[38:39], v[38:39], v[46:47]
	v_mul_f64 v[46:47], v[24:25], s[22:23]
	v_fma_f64 v[48:49], v[34:35], s[24:25], v[44:45]
	v_fma_f64 v[44:45], v[34:35], s[24:25], -v[44:45]
	v_fma_f64 v[50:51], v[30:31], s[20:21], -v[46:47]
	v_fma_f64 v[46:47], v[30:31], s[20:21], v[46:47]
	v_add_f64 v[44:45], v[44:45], v[54:55]
	v_mul_f64 v[54:55], v[26:27], s[22:23]
	v_add_f64 v[48:49], v[48:49], v[56:57]
	v_add_f64 v[50:51], v[50:51], v[60:61]
	;; [unrolled: 1-line block ×3, first 2 shown]
	v_mul_f64 v[58:59], v[24:25], s[38:39]
	v_fma_f64 v[56:57], v[34:35], s[20:21], v[54:55]
	v_fma_f64 v[54:55], v[34:35], s[20:21], -v[54:55]
	v_fma_f64 v[60:61], v[30:31], s[0:1], -v[58:59]
	v_fma_f64 v[58:59], v[30:31], s[0:1], v[58:59]
	v_add_f64 v[54:55], v[54:55], v[62:63]
	v_mul_f64 v[62:63], v[26:27], s[38:39]
	v_add_f64 v[56:57], v[56:57], v[65:66]
	v_add_f64 v[60:61], v[60:61], v[69:70]
	;; [unrolled: 1-line block ×3, first 2 shown]
	v_mul_f64 v[67:68], v[24:25], s[36:37]
	v_fma_f64 v[65:66], v[34:35], s[0:1], v[62:63]
	v_fma_f64 v[62:63], v[34:35], s[0:1], -v[62:63]
	v_mul_f64 v[24:25], v[24:25], s[18:19]
	v_fma_f64 v[69:70], v[30:31], s[28:29], -v[67:68]
	v_fma_f64 v[67:68], v[30:31], s[28:29], v[67:68]
	v_add_f64 v[62:63], v[62:63], v[84:85]
	v_mul_f64 v[84:85], v[26:27], s[36:37]
	v_mul_f64 v[26:27], v[26:27], s[18:19]
	v_add_f64 v[65:66], v[65:66], v[86:87]
	v_add_f64 v[69:70], v[69:70], v[90:91]
	;; [unrolled: 1-line block ×3, first 2 shown]
	v_fma_f64 v[88:89], v[30:31], s[10:11], -v[24:25]
	v_fma_f64 v[24:25], v[30:31], s[10:11], v[24:25]
	v_fma_f64 v[90:91], v[34:35], s[10:11], v[26:27]
	;; [unrolled: 1-line block ×3, first 2 shown]
	v_fma_f64 v[84:85], v[34:35], s[28:29], -v[84:85]
	v_add_f64 v[88:89], v[88:89], v[96:97]
	v_add_f64 v[4:5], v[24:25], v[4:5]
	v_fma_f64 v[24:25], v[34:35], s[10:11], -v[26:27]
	v_add_f64 v[26:27], v[16:17], v[18:19]
	v_add_f64 v[16:17], v[16:17], -v[18:19]
	v_add_f64 v[84:85], v[84:85], v[92:93]
	v_add_f64 v[90:91], v[90:91], v[98:99]
	;; [unrolled: 1-line block ×5, first 2 shown]
	v_mul_f64 v[18:19], v[16:17], s[26:27]
	v_add_f64 v[20:21], v[20:21], -v[22:23]
	v_fma_f64 v[22:23], v[24:25], s[24:25], -v[18:19]
	v_fma_f64 v[18:19], v[24:25], s[24:25], v[18:19]
	v_add_f64 v[92:93], v[22:23], v[32:33]
	v_mul_f64 v[22:23], v[20:21], s[26:27]
	v_add_f64 v[18:19], v[18:19], v[28:29]
	v_add_f64 v[32:33], v[12:13], -v[14:15]
	v_fma_f64 v[30:31], v[26:27], s[24:25], v[22:23]
	v_fma_f64 v[22:23], v[26:27], s[24:25], -v[22:23]
	v_add_f64 v[94:95], v[30:31], v[40:41]
	v_add_f64 v[96:97], v[22:23], v[36:37]
	v_mul_f64 v[22:23], v[16:17], s[6:7]
	v_fma_f64 v[28:29], v[24:25], s[0:1], -v[22:23]
	v_fma_f64 v[22:23], v[24:25], s[0:1], v[22:23]
	v_add_f64 v[98:99], v[28:29], v[42:43]
	v_mul_f64 v[28:29], v[20:21], s[6:7]
	v_add_f64 v[102:103], v[22:23], v[38:39]
	v_add_f64 v[42:43], v[8:9], -v[10:11]
	v_fma_f64 v[22:23], v[26:27], s[0:1], -v[28:29]
	v_fma_f64 v[30:31], v[26:27], s[0:1], v[28:29]
	v_add_f64 v[104:105], v[22:23], v[44:45]
	v_mul_f64 v[22:23], v[16:17], s[34:35]
	v_add_f64 v[100:101], v[30:31], v[48:49]
	v_fma_f64 v[28:29], v[24:25], s[10:11], -v[22:23]
	v_fma_f64 v[22:23], v[24:25], s[10:11], v[22:23]
	v_add_f64 v[106:107], v[28:29], v[50:51]
	v_mul_f64 v[28:29], v[20:21], s[34:35]
	v_add_f64 v[108:109], v[22:23], v[46:47]
	;; [unrolled: 5-line block ×4, first 2 shown]
	v_mul_f64 v[60:61], v[32:33], s[26:27]
	v_mul_f64 v[58:59], v[42:43], s[26:27]
	v_fma_f64 v[22:23], v[26:27], s[28:29], -v[28:29]
	v_fma_f64 v[30:31], v[26:27], s[28:29], v[28:29]
	v_add_f64 v[44:45], v[22:23], v[62:63]
	v_mul_f64 v[22:23], v[16:17], s[22:23]
	v_mul_f64 v[16:17], v[16:17], s[16:17]
	v_add_f64 v[48:49], v[30:31], v[65:66]
	v_fma_f64 v[28:29], v[24:25], s[20:21], -v[22:23]
	v_fma_f64 v[22:23], v[24:25], s[20:21], v[22:23]
	v_add_f64 v[34:35], v[28:29], v[69:70]
	v_mul_f64 v[28:29], v[20:21], s[22:23]
	v_add_f64 v[38:39], v[22:23], v[67:68]
	v_mul_f64 v[20:21], v[20:21], s[16:17]
	v_fma_f64 v[22:23], v[26:27], s[20:21], -v[28:29]
	v_fma_f64 v[30:31], v[26:27], s[20:21], v[28:29]
	v_add_f64 v[40:41], v[22:23], v[84:85]
	v_fma_f64 v[22:23], v[24:25], s[12:13], -v[16:17]
	v_add_f64 v[36:37], v[30:31], v[86:87]
	v_fma_f64 v[16:17], v[24:25], s[12:13], v[16:17]
	v_add_f64 v[30:31], v[22:23], v[88:89]
	v_fma_f64 v[22:23], v[26:27], s[12:13], v[20:21]
	v_add_f64 v[24:25], v[16:17], v[4:5]
	v_fma_f64 v[4:5], v[26:27], s[12:13], -v[20:21]
	v_add_f64 v[26:27], v[12:13], v[14:15]
	v_mul_f64 v[12:13], v[42:43], s[22:23]
	v_add_f64 v[28:29], v[22:23], v[90:91]
	v_add_f64 v[22:23], v[8:9], v[10:11]
	;; [unrolled: 1-line block ×3, first 2 shown]
	v_mul_f64 v[4:5], v[42:43], s[30:31]
	v_fma_f64 v[14:15], v[26:27], s[20:21], -v[12:13]
	v_fma_f64 v[54:55], v[26:27], s[24:25], -v[58:59]
	v_fma_f64 v[12:13], v[26:27], s[20:21], v[12:13]
	v_fma_f64 v[58:59], v[26:27], s[24:25], v[58:59]
	;; [unrolled: 1-line block ×3, first 2 shown]
	v_fma_f64 v[60:61], v[22:23], s[24:25], -v[60:61]
	v_fma_f64 v[6:7], v[26:27], s[28:29], -v[4:5]
	v_fma_f64 v[4:5], v[26:27], s[28:29], v[4:5]
	v_add_f64 v[16:17], v[14:15], v[98:99]
	v_mul_f64 v[14:15], v[32:33], s[22:23]
	v_add_f64 v[54:55], v[54:55], v[106:107]
	v_add_f64 v[58:59], v[58:59], v[108:109]
	;; [unrolled: 1-line block ×3, first 2 shown]
	v_mul_f64 v[62:63], v[42:43], s[18:19]
	v_add_f64 v[8:9], v[6:7], v[92:93]
	v_mul_f64 v[6:7], v[32:33], s[30:31]
	v_add_f64 v[4:5], v[4:5], v[18:19]
	v_fma_f64 v[18:19], v[22:23], s[20:21], v[14:15]
	v_fma_f64 v[14:15], v[22:23], s[20:21], -v[14:15]
	v_add_f64 v[60:61], v[60:61], v[110:111]
	v_add_f64 v[12:13], v[12:13], v[102:103]
	v_fma_f64 v[65:66], v[26:27], s[10:11], -v[62:63]
	v_fma_f64 v[10:11], v[22:23], s[28:29], v[6:7]
	v_fma_f64 v[6:7], v[22:23], s[28:29], -v[6:7]
	v_add_f64 v[18:19], v[18:19], v[100:101]
	v_add_f64 v[14:15], v[14:15], v[104:105]
	;; [unrolled: 1-line block ×3, first 2 shown]
	v_mul_f64 v[50:51], v[32:33], s[18:19]
	v_add_f64 v[10:11], v[10:11], v[94:95]
	v_add_f64 v[6:7], v[6:7], v[96:97]
	v_fma_f64 v[67:68], v[22:23], s[10:11], v[50:51]
	v_add_f64 v[67:68], v[67:68], v[48:49]
	v_fma_f64 v[48:49], v[26:27], s[10:11], v[62:63]
	v_add_f64 v[46:47], v[48:49], v[46:47]
	v_fma_f64 v[48:49], v[22:23], s[10:11], -v[50:51]
	v_add_f64 v[48:49], v[48:49], v[44:45]
	v_mul_f64 v[44:45], v[42:43], s[16:17]
	v_mul_f64 v[42:43], v[42:43], s[6:7]
	v_fma_f64 v[50:51], v[26:27], s[12:13], -v[44:45]
	v_fma_f64 v[44:45], v[26:27], s[12:13], v[44:45]
	v_add_f64 v[34:35], v[50:51], v[34:35]
	v_mul_f64 v[50:51], v[32:33], s[16:17]
	v_add_f64 v[38:39], v[44:45], v[38:39]
	v_fma_f64 v[44:45], v[22:23], s[12:13], -v[50:51]
	v_fma_f64 v[62:63], v[22:23], s[12:13], v[50:51]
	v_add_f64 v[40:41], v[44:45], v[40:41]
	v_fma_f64 v[44:45], v[26:27], s[0:1], -v[42:43]
	v_fma_f64 v[26:27], v[26:27], s[0:1], v[42:43]
	v_add_f64 v[36:37], v[62:63], v[36:37]
	v_add_f64 v[30:31], v[44:45], v[30:31]
	v_mul_f64 v[44:45], v[32:33], s[6:7]
	v_add_f64 v[24:25], v[26:27], v[24:25]
	v_fma_f64 v[32:33], v[22:23], s[0:1], v[44:45]
	v_fma_f64 v[22:23], v[22:23], s[0:1], -v[44:45]
	v_cmp_gt_u32_e64 s[0:1], 13, v78
	v_add_f64 v[32:33], v[32:33], v[28:29]
	v_add_f64 v[26:27], v[22:23], v[20:21]
	v_mov_b32_e32 v21, 4
	v_mul_u32_u24_e32 v20, 0xa90, v53
	v_lshlrev_b32_sdwa v21, v21, v52 dst_sel:DWORD dst_unused:UNUSED_PAD src0_sel:DWORD src1_sel:BYTE_0
	v_add3_u32 v20, 0, v20, v21
	ds_write_b128 v20, v[0:3]
	ds_write_b128 v20, v[8:11] offset:208
	ds_write_b128 v20, v[16:19] offset:416
	ds_write_b128 v20, v[54:57] offset:624
	ds_write_b128 v20, v[65:68] offset:832
	ds_write_b128 v20, v[34:37] offset:1040
	ds_write_b128 v20, v[30:33] offset:1248
	ds_write_b128 v20, v[24:27] offset:1456
	ds_write_b128 v20, v[38:41] offset:1664
	ds_write_b128 v20, v[46:49] offset:1872
	ds_write_b128 v20, v[58:61] offset:2080
	ds_write_b128 v20, v[12:15] offset:2288
	ds_write_b128 v20, v[4:7] offset:2496
	s_waitcnt lgkmcnt(0)
	; wave barrier
	s_waitcnt lgkmcnt(0)
	ds_read_b128 v[48:51], v82
	ds_read_b128 v[52:55], v82 offset:2704
	ds_read_b128 v[60:63], v82 offset:5408
	ds_read_b128 v[56:59], v82 offset:8112
	ds_read_b128 v[36:39], v64
	ds_read_b128 v[44:47], v82 offset:3536
	ds_read_b128 v[68:71], v82 offset:6240
	ds_read_b128 v[64:67], v82 offset:8944
	ds_read_b128 v[20:23], v83
	ds_read_b128 v[28:31], v82 offset:4368
	ds_read_b128 v[40:43], v82 offset:7072
	ds_read_b128 v[32:35], v82 offset:9776
                                        ; implicit-def: $vgpr2_vgpr3
                                        ; implicit-def: $vgpr10_vgpr11
                                        ; implicit-def: $vgpr14_vgpr15
	s_and_saveexec_b64 s[6:7], s[0:1]
	s_cbranch_execz .LBB0_15
; %bb.14:
	v_mul_i32_i24_e32 v0, 0xffffff40, v78
	v_add_u32_e32 v12, v76, v0
	ds_read_b128 v[4:7], v77
	ds_read_b128 v[0:3], v12 offset:5200
	ds_read_b128 v[8:11], v12 offset:7904
	;; [unrolled: 1-line block ×3, first 2 shown]
.LBB0_15:
	s_or_b64 exec, exec, s[6:7]
	s_and_saveexec_b64 s[6:7], vcc
	s_cbranch_execz .LBB0_18
; %bb.16:
	v_mul_lo_u32 v16, s5, v74
	v_mul_lo_u32 v17, s4, v75
	v_mad_u64_u32 v[76:77], s[4:5], s4, v74, 0
	v_mul_i32_i24_e32 v74, 3, v81
	v_mov_b32_e32 v75, 0
	v_add3_u32 v77, v77, v17, v16
	v_lshlrev_b64 v[16:17], 4, v[74:75]
	v_mov_b32_e32 v99, s9
	v_add_co_u32_e32 v16, vcc, s8, v16
	v_addc_co_u32_e32 v17, vcc, v99, v17, vcc
	global_load_dwordx4 v[81:84], v[16:17], off offset:2528
	global_load_dwordx4 v[85:88], v[16:17], off offset:2512
	;; [unrolled: 1-line block ×3, first 2 shown]
	v_mul_i32_i24_e32 v74, 3, v80
	s_mov_b32 s5, 0x60f25deb
	s_movk_i32 s4, 0xa9
	s_movk_i32 s10, 0x2a4
	s_waitcnt vmcnt(1) lgkmcnt(1)
	v_mul_f64 v[16:17], v[42:43], v[85:86]
	v_fma_f64 v[16:17], v[40:41], v[87:88], v[16:17]
	v_add_f64 v[93:94], v[22:23], -v[16:17]
	s_waitcnt vmcnt(0)
	v_mul_f64 v[16:17], v[30:31], v[91:92]
	v_fma_f64 v[95:96], v[28:29], v[89:90], -v[16:17]
	s_waitcnt lgkmcnt(0)
	v_mul_f64 v[16:17], v[34:35], v[83:84]
	v_fma_f64 v[16:17], v[32:33], v[81:82], -v[16:17]
	v_add_f64 v[97:98], v[95:96], -v[16:17]
	v_mul_f64 v[16:17], v[42:43], v[87:88]
	v_add_f64 v[18:19], v[93:94], v[97:98]
	v_fma_f64 v[16:17], v[40:41], v[85:86], -v[16:17]
	v_fma_f64 v[26:27], v[93:94], 2.0, -v[18:19]
	v_add_f64 v[40:41], v[20:21], -v[16:17]
	v_mul_f64 v[16:17], v[28:29], v[91:92]
	v_fma_f64 v[28:29], v[30:31], v[89:90], v[16:17]
	v_mul_f64 v[16:17], v[32:33], v[83:84]
	v_fma_f64 v[32:33], v[22:23], 2.0, -v[93:94]
	v_fma_f64 v[16:17], v[34:35], v[81:82], v[16:17]
	v_add_f64 v[30:31], v[28:29], -v[16:17]
	v_fma_f64 v[22:23], v[28:29], 2.0, -v[30:31]
	v_add_f64 v[16:17], v[40:41], -v[30:31]
	v_fma_f64 v[28:29], v[20:21], 2.0, -v[40:41]
	v_fma_f64 v[20:21], v[95:96], 2.0, -v[97:98]
	v_add_f64 v[22:23], v[32:33], -v[22:23]
	v_fma_f64 v[24:25], v[40:41], 2.0, -v[16:17]
	v_add_f64 v[20:21], v[28:29], -v[20:21]
	v_fma_f64 v[30:31], v[32:33], 2.0, -v[22:23]
	v_lshlrev_b64 v[32:33], 4, v[74:75]
	v_add_co_u32_e32 v32, vcc, s8, v32
	v_addc_co_u32_e32 v33, vcc, v99, v33, vcc
	global_load_dwordx4 v[80:83], v[32:33], off offset:2528
	global_load_dwordx4 v[84:87], v[32:33], off offset:2512
	global_load_dwordx4 v[88:91], v[32:33], off offset:2496
	v_fma_f64 v[28:29], v[28:29], 2.0, -v[20:21]
	s_waitcnt vmcnt(1)
	v_mul_f64 v[32:33], v[70:71], v[84:85]
	v_fma_f64 v[32:33], v[68:69], v[86:87], v[32:33]
	v_add_f64 v[92:93], v[38:39], -v[32:33]
	s_waitcnt vmcnt(0)
	v_mul_f64 v[32:33], v[46:47], v[90:91]
	v_fma_f64 v[94:95], v[44:45], v[88:89], -v[32:33]
	v_mul_f64 v[32:33], v[66:67], v[82:83]
	v_fma_f64 v[32:33], v[64:65], v[80:81], -v[32:33]
	v_add_f64 v[96:97], v[94:95], -v[32:33]
	v_mul_f64 v[32:33], v[70:71], v[86:87]
	v_add_f64 v[34:35], v[92:93], v[96:97]
	v_fma_f64 v[32:33], v[68:69], v[84:85], -v[32:33]
	v_fma_f64 v[42:43], v[92:93], 2.0, -v[34:35]
	v_add_f64 v[68:69], v[36:37], -v[32:33]
	v_mul_f64 v[32:33], v[44:45], v[90:91]
	v_fma_f64 v[44:45], v[46:47], v[88:89], v[32:33]
	v_mul_f64 v[32:33], v[64:65], v[82:83]
	v_fma_f64 v[64:65], v[38:39], 2.0, -v[92:93]
	v_fma_f64 v[32:33], v[66:67], v[80:81], v[32:33]
	v_add_f64 v[46:47], v[44:45], -v[32:33]
	v_fma_f64 v[38:39], v[44:45], 2.0, -v[46:47]
	v_add_f64 v[32:33], v[68:69], -v[46:47]
	v_fma_f64 v[44:45], v[36:37], 2.0, -v[68:69]
	v_fma_f64 v[36:37], v[94:95], 2.0, -v[96:97]
	v_add_f64 v[38:39], v[64:65], -v[38:39]
	v_fma_f64 v[40:41], v[68:69], 2.0, -v[32:33]
	v_add_f64 v[36:37], v[44:45], -v[36:37]
	v_fma_f64 v[46:47], v[64:65], 2.0, -v[38:39]
	v_mul_u32_u24_e32 v64, 3, v78
	v_lshlrev_b32_e32 v74, 4, v64
	global_load_dwordx4 v[64:67], v74, s[8:9] offset:2528
	global_load_dwordx4 v[68:71], v74, s[8:9] offset:2512
	;; [unrolled: 1-line block ×3, first 2 shown]
	v_fma_f64 v[44:45], v[44:45], 2.0, -v[36:37]
	s_waitcnt vmcnt(1)
	v_mul_f64 v[84:85], v[62:63], v[68:69]
	v_mul_f64 v[62:63], v[62:63], v[70:71]
	v_fma_f64 v[84:85], v[60:61], v[70:71], v[84:85]
	v_fma_f64 v[60:61], v[60:61], v[68:69], -v[62:63]
	v_add_f64 v[90:91], v[50:51], -v[84:85]
	s_waitcnt vmcnt(0)
	v_mul_f64 v[84:85], v[54:55], v[82:83]
	v_add_f64 v[60:61], v[48:49], -v[60:61]
	v_fma_f64 v[50:51], v[50:51], 2.0, -v[90:91]
	v_fma_f64 v[92:93], v[52:53], v[80:81], -v[84:85]
	v_mul_f64 v[52:53], v[52:53], v[82:83]
	v_mul_f64 v[84:85], v[58:59], v[66:67]
	v_fma_f64 v[48:49], v[48:49], 2.0, -v[60:61]
	v_fma_f64 v[52:53], v[54:55], v[80:81], v[52:53]
	v_mul_f64 v[54:55], v[56:57], v[66:67]
	v_fma_f64 v[84:85], v[56:57], v[64:65], -v[84:85]
	v_fma_f64 v[54:55], v[58:59], v[64:65], v[54:55]
	v_add_f64 v[94:95], v[92:93], -v[84:85]
	v_add_f64 v[54:55], v[52:53], -v[54:55]
	v_add_f64 v[84:85], v[90:91], v[94:95]
	v_fma_f64 v[52:53], v[52:53], 2.0, -v[54:55]
	v_add_f64 v[82:83], v[60:61], -v[54:55]
	v_fma_f64 v[88:89], v[90:91], 2.0, -v[84:85]
	v_add_f64 v[52:53], v[50:51], -v[52:53]
	v_fma_f64 v[86:87], v[60:61], 2.0, -v[82:83]
	v_fma_f64 v[56:57], v[50:51], 2.0, -v[52:53]
	;; [unrolled: 1-line block ×3, first 2 shown]
	v_add_f64 v[50:51], v[48:49], -v[50:51]
	v_fma_f64 v[54:55], v[48:49], 2.0, -v[50:51]
	v_mul_hi_u32 v48, v78, s5
	v_lshrrev_b32_e32 v48, 6, v48
	v_mul_lo_u32 v48, v48, s4
	v_sub_u32_e32 v60, v78, v48
	v_mad_u64_u32 v[58:59], s[6:7], s2, v60, 0
	v_mov_b32_e32 v48, v59
	v_mad_u64_u32 v[48:49], s[6:7], s3, v60, v[48:49]
	v_mov_b32_e32 v59, v48
	v_lshlrev_b64 v[48:49], 4, v[76:77]
	v_lshlrev_b64 v[58:59], 4, v[58:59]
	v_add_co_u32_e32 v61, vcc, s14, v48
	v_mov_b32_e32 v48, s15
	v_addc_co_u32_e32 v62, vcc, v48, v49, vcc
	v_lshlrev_b64 v[48:49], 4, v[72:73]
	v_add_co_u32_e32 v48, vcc, v61, v48
	v_addc_co_u32_e32 v49, vcc, v62, v49, vcc
	v_add_co_u32_e32 v58, vcc, v48, v58
	v_addc_co_u32_e32 v59, vcc, v49, v59, vcc
	global_store_dwordx4 v[58:59], v[54:57], off
	s_nop 0
	v_add_u32_e32 v56, 0xa9, v60
	v_mad_u64_u32 v[54:55], s[6:7], s2, v56, 0
	v_mad_u64_u32 v[55:56], s[6:7], s3, v56, v[55:56]
	v_add_u32_e32 v56, 0x152, v60
	v_lshlrev_b64 v[54:55], 4, v[54:55]
	v_add_co_u32_e32 v54, vcc, v48, v54
	v_addc_co_u32_e32 v55, vcc, v49, v55, vcc
	global_store_dwordx4 v[54:55], v[86:89], off
	v_mad_u64_u32 v[54:55], s[6:7], s2, v56, 0
	v_mad_u64_u32 v[55:56], s[6:7], s3, v56, v[55:56]
	v_lshlrev_b64 v[54:55], 4, v[54:55]
	v_add_co_u32_e32 v54, vcc, v48, v54
	v_addc_co_u32_e32 v55, vcc, v49, v55, vcc
	global_store_dwordx4 v[54:55], v[50:53], off
	s_nop 0
	v_add_u32_e32 v52, 0x1fb, v60
	v_mad_u64_u32 v[50:51], s[6:7], s2, v52, 0
	v_mad_u64_u32 v[51:52], s[6:7], s3, v52, v[51:52]
	v_lshlrev_b64 v[50:51], 4, v[50:51]
	v_add_co_u32_e32 v50, vcc, v48, v50
	v_addc_co_u32_e32 v51, vcc, v49, v51, vcc
	global_store_dwordx4 v[50:51], v[82:85], off
	v_add_u32_e32 v50, 52, v78
	v_mul_hi_u32 v51, v50, s5
	v_lshrrev_b32_e32 v51, 6, v51
	v_mul_lo_u32 v52, v51, s4
	v_sub_u32_e32 v50, v50, v52
	v_mad_u64_u32 v[50:51], s[6:7], v51, s10, v[50:51]
	v_mad_u64_u32 v[51:52], s[6:7], s2, v50, 0
	;; [unrolled: 1-line block ×3, first 2 shown]
	v_lshlrev_b64 v[51:52], 4, v[51:52]
	v_add_co_u32_e32 v51, vcc, v48, v51
	v_addc_co_u32_e32 v52, vcc, v49, v52, vcc
	global_store_dwordx4 v[51:52], v[44:47], off
	s_nop 0
	v_add_u32_e32 v46, 0xa9, v50
	v_mad_u64_u32 v[44:45], s[6:7], s2, v46, 0
	v_mad_u64_u32 v[45:46], s[6:7], s3, v46, v[45:46]
	v_lshlrev_b64 v[44:45], 4, v[44:45]
	v_add_co_u32_e32 v44, vcc, v48, v44
	v_addc_co_u32_e32 v45, vcc, v49, v45, vcc
	global_store_dwordx4 v[44:45], v[40:43], off
	s_nop 0
	v_add_u32_e32 v42, 0x152, v50
	v_mad_u64_u32 v[40:41], s[6:7], s2, v42, 0
	v_mad_u64_u32 v[41:42], s[6:7], s3, v42, v[41:42]
	;; [unrolled: 8-line block ×3, first 2 shown]
	v_lshlrev_b64 v[36:37], 4, v[36:37]
	v_add_co_u32_e32 v36, vcc, v48, v36
	v_addc_co_u32_e32 v37, vcc, v49, v37, vcc
	global_store_dwordx4 v[36:37], v[32:35], off
	s_nop 0
	v_add_u32_e32 v32, 0x68, v78
	v_mul_hi_u32 v33, v32, s5
	v_lshrrev_b32_e32 v33, 6, v33
	v_mul_lo_u32 v34, v33, s4
	v_sub_u32_e32 v32, v32, v34
	v_mad_u64_u32 v[32:33], s[6:7], v33, s10, v[32:33]
	v_mad_u64_u32 v[33:34], s[6:7], s2, v32, 0
	;; [unrolled: 1-line block ×3, first 2 shown]
	v_lshlrev_b64 v[33:34], 4, v[33:34]
	v_add_co_u32_e32 v33, vcc, v48, v33
	v_addc_co_u32_e32 v34, vcc, v49, v34, vcc
	global_store_dwordx4 v[33:34], v[28:31], off
	s_nop 0
	v_add_u32_e32 v30, 0xa9, v32
	v_mad_u64_u32 v[28:29], s[6:7], s2, v30, 0
	v_mad_u64_u32 v[29:30], s[6:7], s3, v30, v[29:30]
	v_lshlrev_b64 v[28:29], 4, v[28:29]
	v_add_co_u32_e32 v28, vcc, v48, v28
	v_addc_co_u32_e32 v29, vcc, v49, v29, vcc
	global_store_dwordx4 v[28:29], v[24:27], off
	s_nop 0
	v_add_u32_e32 v26, 0x152, v32
	v_mad_u64_u32 v[24:25], s[6:7], s2, v26, 0
	v_mad_u64_u32 v[25:26], s[6:7], s3, v26, v[25:26]
	;; [unrolled: 8-line block ×3, first 2 shown]
	v_lshlrev_b64 v[20:21], 4, v[20:21]
	v_add_co_u32_e32 v20, vcc, v48, v20
	v_addc_co_u32_e32 v21, vcc, v49, v21, vcc
	global_store_dwordx4 v[20:21], v[16:19], off
	s_nop 0
	v_add_u32_e32 v16, 0x9c, v78
	v_cmp_gt_u32_e32 vcc, s4, v16
	s_and_b64 exec, exec, vcc
	s_cbranch_execz .LBB0_18
; %bb.17:
	v_add_u32_e32 v17, -13, v78
	v_cndmask_b32_e64 v17, v17, v79, s[0:1]
	v_mul_i32_i24_e32 v74, 3, v17
	v_lshlrev_b64 v[17:18], 4, v[74:75]
	v_mov_b32_e32 v19, s9
	v_add_co_u32_e32 v29, vcc, s8, v17
	v_addc_co_u32_e32 v30, vcc, v19, v18, vcc
	global_load_dwordx4 v[17:20], v[29:30], off offset:2496
	global_load_dwordx4 v[21:24], v[29:30], off offset:2512
	;; [unrolled: 1-line block ×3, first 2 shown]
	v_add_u32_e32 v39, 0x145, v78
	v_mad_u64_u32 v[29:30], s[0:1], s2, v16, 0
	v_add_u32_e32 v40, 0x1ee, v78
	v_mad_u64_u32 v[31:32], s[0:1], s2, v39, 0
	v_mad_u64_u32 v[33:34], s[0:1], s2, v40, 0
	;; [unrolled: 1-line block ×3, first 2 shown]
	v_mov_b32_e32 v16, v32
	v_mov_b32_e32 v30, v34
	v_add_u32_e32 v46, 0x297, v78
	v_mad_u64_u32 v[35:36], s[0:1], s2, v46, 0
	v_mov_b32_e32 v32, v36
	v_mad_u64_u32 v[46:47], s[0:1], s3, v46, v[32:33]
	v_mov_b32_e32 v36, v46
	s_waitcnt vmcnt(2)
	v_mad_u64_u32 v[38:39], s[0:1], s3, v39, v[16:17]
	v_mad_u64_u32 v[39:40], s[0:1], s3, v40, v[30:31]
	v_mul_f64 v[40:41], v[2:3], v[19:20]
	v_mul_f64 v[19:20], v[0:1], v[19:20]
	s_waitcnt vmcnt(1)
	v_mul_f64 v[42:43], v[10:11], v[23:24]
	v_mul_f64 v[23:24], v[8:9], v[23:24]
	s_waitcnt vmcnt(0)
	v_mul_f64 v[44:45], v[14:15], v[27:28]
	v_mul_f64 v[27:28], v[12:13], v[27:28]
	v_mov_b32_e32 v30, v37
	v_mov_b32_e32 v32, v38
	v_fma_f64 v[0:1], v[0:1], v[17:18], -v[40:41]
	v_fma_f64 v[2:3], v[2:3], v[17:18], v[19:20]
	v_fma_f64 v[8:9], v[8:9], v[21:22], -v[42:43]
	v_fma_f64 v[10:11], v[10:11], v[21:22], v[23:24]
	;; [unrolled: 2-line block ×3, first 2 shown]
	v_lshlrev_b64 v[16:17], 4, v[29:30]
	v_lshlrev_b64 v[18:19], 4, v[31:32]
	v_add_co_u32_e32 v16, vcc, v48, v16
	v_add_f64 v[8:9], v[4:5], -v[8:9]
	v_add_f64 v[10:11], v[6:7], -v[10:11]
	;; [unrolled: 1-line block ×4, first 2 shown]
	v_mov_b32_e32 v34, v39
	v_addc_co_u32_e32 v17, vcc, v49, v17, vcc
	v_lshlrev_b64 v[20:21], 4, v[33:34]
	v_fma_f64 v[24:25], v[4:5], 2.0, -v[8:9]
	v_fma_f64 v[26:27], v[6:7], 2.0, -v[10:11]
	;; [unrolled: 1-line block ×4, first 2 shown]
	v_add_f64 v[0:1], v[8:9], -v[14:15]
	v_add_f64 v[2:3], v[10:11], v[12:13]
	v_add_co_u32_e32 v18, vcc, v48, v18
	v_addc_co_u32_e32 v19, vcc, v49, v19, vcc
	v_add_f64 v[4:5], v[24:25], -v[4:5]
	v_add_f64 v[6:7], v[26:27], -v[6:7]
	v_fma_f64 v[8:9], v[8:9], 2.0, -v[0:1]
	v_fma_f64 v[10:11], v[10:11], 2.0, -v[2:3]
	v_lshlrev_b64 v[22:23], 4, v[35:36]
	v_add_co_u32_e32 v20, vcc, v48, v20
	v_addc_co_u32_e32 v21, vcc, v49, v21, vcc
	v_fma_f64 v[12:13], v[24:25], 2.0, -v[4:5]
	v_fma_f64 v[14:15], v[26:27], 2.0, -v[6:7]
	v_add_co_u32_e32 v22, vcc, v48, v22
	v_addc_co_u32_e32 v23, vcc, v49, v23, vcc
	global_store_dwordx4 v[16:17], v[12:15], off
	global_store_dwordx4 v[18:19], v[8:11], off
	;; [unrolled: 1-line block ×4, first 2 shown]
.LBB0_18:
	s_endpgm
	.section	.rodata,"a",@progbits
	.p2align	6, 0x0
	.amdhsa_kernel fft_rtc_fwd_len676_factors_13_13_4_wgs_52_tpt_52_dp_op_CI_CI_sbrr_dirReg
		.amdhsa_group_segment_fixed_size 0
		.amdhsa_private_segment_fixed_size 0
		.amdhsa_kernarg_size 104
		.amdhsa_user_sgpr_count 6
		.amdhsa_user_sgpr_private_segment_buffer 1
		.amdhsa_user_sgpr_dispatch_ptr 0
		.amdhsa_user_sgpr_queue_ptr 0
		.amdhsa_user_sgpr_kernarg_segment_ptr 1
		.amdhsa_user_sgpr_dispatch_id 0
		.amdhsa_user_sgpr_flat_scratch_init 0
		.amdhsa_user_sgpr_private_segment_size 0
		.amdhsa_uses_dynamic_stack 0
		.amdhsa_system_sgpr_private_segment_wavefront_offset 0
		.amdhsa_system_sgpr_workgroup_id_x 1
		.amdhsa_system_sgpr_workgroup_id_y 0
		.amdhsa_system_sgpr_workgroup_id_z 0
		.amdhsa_system_sgpr_workgroup_info 0
		.amdhsa_system_vgpr_workitem_id 0
		.amdhsa_next_free_vgpr 116
		.amdhsa_next_free_sgpr 46
		.amdhsa_reserve_vcc 1
		.amdhsa_reserve_flat_scratch 0
		.amdhsa_float_round_mode_32 0
		.amdhsa_float_round_mode_16_64 0
		.amdhsa_float_denorm_mode_32 3
		.amdhsa_float_denorm_mode_16_64 3
		.amdhsa_dx10_clamp 1
		.amdhsa_ieee_mode 1
		.amdhsa_fp16_overflow 0
		.amdhsa_exception_fp_ieee_invalid_op 0
		.amdhsa_exception_fp_denorm_src 0
		.amdhsa_exception_fp_ieee_div_zero 0
		.amdhsa_exception_fp_ieee_overflow 0
		.amdhsa_exception_fp_ieee_underflow 0
		.amdhsa_exception_fp_ieee_inexact 0
		.amdhsa_exception_int_div_zero 0
	.end_amdhsa_kernel
	.text
.Lfunc_end0:
	.size	fft_rtc_fwd_len676_factors_13_13_4_wgs_52_tpt_52_dp_op_CI_CI_sbrr_dirReg, .Lfunc_end0-fft_rtc_fwd_len676_factors_13_13_4_wgs_52_tpt_52_dp_op_CI_CI_sbrr_dirReg
                                        ; -- End function
	.section	.AMDGPU.csdata,"",@progbits
; Kernel info:
; codeLenInByte = 12216
; NumSgprs: 50
; NumVgprs: 116
; ScratchSize: 0
; MemoryBound: 1
; FloatMode: 240
; IeeeMode: 1
; LDSByteSize: 0 bytes/workgroup (compile time only)
; SGPRBlocks: 6
; VGPRBlocks: 28
; NumSGPRsForWavesPerEU: 50
; NumVGPRsForWavesPerEU: 116
; Occupancy: 2
; WaveLimiterHint : 1
; COMPUTE_PGM_RSRC2:SCRATCH_EN: 0
; COMPUTE_PGM_RSRC2:USER_SGPR: 6
; COMPUTE_PGM_RSRC2:TRAP_HANDLER: 0
; COMPUTE_PGM_RSRC2:TGID_X_EN: 1
; COMPUTE_PGM_RSRC2:TGID_Y_EN: 0
; COMPUTE_PGM_RSRC2:TGID_Z_EN: 0
; COMPUTE_PGM_RSRC2:TIDIG_COMP_CNT: 0
	.type	__hip_cuid_b063200e6c91d13e,@object ; @__hip_cuid_b063200e6c91d13e
	.section	.bss,"aw",@nobits
	.globl	__hip_cuid_b063200e6c91d13e
__hip_cuid_b063200e6c91d13e:
	.byte	0                               ; 0x0
	.size	__hip_cuid_b063200e6c91d13e, 1

	.ident	"AMD clang version 19.0.0git (https://github.com/RadeonOpenCompute/llvm-project roc-6.4.0 25133 c7fe45cf4b819c5991fe208aaa96edf142730f1d)"
	.section	".note.GNU-stack","",@progbits
	.addrsig
	.addrsig_sym __hip_cuid_b063200e6c91d13e
	.amdgpu_metadata
---
amdhsa.kernels:
  - .args:
      - .actual_access:  read_only
        .address_space:  global
        .offset:         0
        .size:           8
        .value_kind:     global_buffer
      - .offset:         8
        .size:           8
        .value_kind:     by_value
      - .actual_access:  read_only
        .address_space:  global
        .offset:         16
        .size:           8
        .value_kind:     global_buffer
      - .actual_access:  read_only
        .address_space:  global
        .offset:         24
        .size:           8
        .value_kind:     global_buffer
      - .actual_access:  read_only
        .address_space:  global
        .offset:         32
        .size:           8
        .value_kind:     global_buffer
      - .offset:         40
        .size:           8
        .value_kind:     by_value
      - .actual_access:  read_only
        .address_space:  global
        .offset:         48
        .size:           8
        .value_kind:     global_buffer
      - .actual_access:  read_only
        .address_space:  global
        .offset:         56
        .size:           8
        .value_kind:     global_buffer
      - .offset:         64
        .size:           4
        .value_kind:     by_value
      - .actual_access:  read_only
        .address_space:  global
        .offset:         72
        .size:           8
        .value_kind:     global_buffer
      - .actual_access:  read_only
        .address_space:  global
        .offset:         80
        .size:           8
        .value_kind:     global_buffer
      - .actual_access:  read_only
        .address_space:  global
        .offset:         88
        .size:           8
        .value_kind:     global_buffer
      - .actual_access:  write_only
        .address_space:  global
        .offset:         96
        .size:           8
        .value_kind:     global_buffer
    .group_segment_fixed_size: 0
    .kernarg_segment_align: 8
    .kernarg_segment_size: 104
    .language:       OpenCL C
    .language_version:
      - 2
      - 0
    .max_flat_workgroup_size: 52
    .name:           fft_rtc_fwd_len676_factors_13_13_4_wgs_52_tpt_52_dp_op_CI_CI_sbrr_dirReg
    .private_segment_fixed_size: 0
    .sgpr_count:     50
    .sgpr_spill_count: 0
    .symbol:         fft_rtc_fwd_len676_factors_13_13_4_wgs_52_tpt_52_dp_op_CI_CI_sbrr_dirReg.kd
    .uniform_work_group_size: 1
    .uses_dynamic_stack: false
    .vgpr_count:     116
    .vgpr_spill_count: 0
    .wavefront_size: 64
amdhsa.target:   amdgcn-amd-amdhsa--gfx906
amdhsa.version:
  - 1
  - 2
...

	.end_amdgpu_metadata
